;; amdgpu-corpus repo=ggml-org/llama.cpp kind=compiled arch=gfx906 opt=O3
	.amdgcn_target "amdgcn-amd-amdhsa--gfx906"
	.amdhsa_code_object_version 6
	.section	.text._ZL9cpy_f32_qIXadL_ZL17cpy_blck_f32_q8_0PKcPcEELi32EEvS1_S2_lllllllllllllll,"axG",@progbits,_ZL9cpy_f32_qIXadL_ZL17cpy_blck_f32_q8_0PKcPcEELi32EEvS1_S2_lllllllllllllll,comdat
	.globl	_ZL9cpy_f32_qIXadL_ZL17cpy_blck_f32_q8_0PKcPcEELi32EEvS1_S2_lllllllllllllll ; -- Begin function _ZL9cpy_f32_qIXadL_ZL17cpy_blck_f32_q8_0PKcPcEELi32EEvS1_S2_lllllllllllllll
	.p2align	8
	.type	_ZL9cpy_f32_qIXadL_ZL17cpy_blck_f32_q8_0PKcPcEELi32EEvS1_S2_lllllllllllllll,@function
_ZL9cpy_f32_qIXadL_ZL17cpy_blck_f32_q8_0PKcPcEELi32EEvS1_S2_lllllllllllllll: ; @_ZL9cpy_f32_qIXadL_ZL17cpy_blck_f32_q8_0PKcPcEELi32EEvS1_S2_lllllllllllllll
; %bb.0:
	s_load_dword s0, s[4:5], 0x94
	v_mov_b32_e32 v2, 0
	v_mov_b32_e32 v1, v2
	;; [unrolled: 1-line block ×3, first 2 shown]
	s_load_dwordx16 s[8:23], s[4:5], 0x0
	s_waitcnt lgkmcnt(0)
	s_and_b32 s0, s0, 0xffff
	v_mad_u64_u32 v[0:1], s[0:1], s0, v3, v[0:1]
	v_lshlrev_b64 v[4:5], 5, v[0:1]
	v_cmp_gt_i64_e32 vcc, s[12:13], v[4:5]
	s_and_saveexec_b64 s[0:1], vcc
	s_cbranch_execz .LBB0_26
; %bb.1:
	s_mul_i32 s0, s16, s15
	s_mul_hi_u32 s1, s16, s14
	s_add_i32 s0, s1, s0
	s_mul_i32 s1, s17, s14
	s_mul_i32 s16, s16, s14
	s_add_i32 s17, s0, s1
	s_mul_i32 s0, s16, s19
	s_mul_hi_u32 s1, s16, s18
	s_add_i32 s0, s1, s0
	s_mul_i32 s1, s17, s18
	s_add_i32 s19, s0, s1
	v_or_b32_e32 v3, s19, v5
	v_cmp_ne_u64_e32 vcc, 0, v[2:3]
	s_mul_i32 s18, s16, s18
	v_ashrrev_i32_e32 v10, 31, v5
                                        ; implicit-def: $vgpr0_vgpr1
	s_and_saveexec_b64 s[0:1], vcc
	s_xor_b64 s[2:3], exec, s[0:1]
	s_cbranch_execz .LBB0_3
; %bb.2:
	s_ashr_i32 s6, s19, 31
	s_add_u32 s0, s18, s6
	s_mov_b32 s7, s6
	s_addc_u32 s1, s19, s6
	s_xor_b64 s[12:13], s[0:1], s[6:7]
	v_cvt_f32_u32_e32 v0, s12
	v_cvt_f32_u32_e32 v1, s13
	s_sub_u32 s7, 0, s12
	s_subb_u32 s24, 0, s13
	v_madmk_f32 v0, v1, 0x4f800000, v0
	v_rcp_f32_e32 v0, v0
	v_mul_f32_e32 v0, 0x5f7ffffc, v0
	v_mul_f32_e32 v1, 0x2f800000, v0
	v_trunc_f32_e32 v1, v1
	v_madmk_f32 v0, v1, 0xcf800000, v0
	v_cvt_u32_f32_e32 v1, v1
	v_cvt_u32_f32_e32 v0, v0
	v_readfirstlane_b32 s25, v1
	v_readfirstlane_b32 s0, v0
	s_mul_i32 s1, s7, s25
	s_mul_hi_u32 s27, s7, s0
	s_mul_i32 s26, s24, s0
	s_add_i32 s1, s27, s1
	s_add_i32 s1, s1, s26
	s_mul_i32 s28, s7, s0
	s_mul_i32 s27, s0, s1
	s_mul_hi_u32 s29, s0, s28
	s_mul_hi_u32 s26, s0, s1
	s_add_u32 s27, s29, s27
	s_addc_u32 s26, 0, s26
	s_mul_hi_u32 s30, s25, s28
	s_mul_i32 s28, s25, s28
	s_add_u32 s27, s27, s28
	s_mul_hi_u32 s29, s25, s1
	s_addc_u32 s26, s26, s30
	s_addc_u32 s27, s29, 0
	s_mul_i32 s1, s25, s1
	s_add_u32 s1, s26, s1
	s_addc_u32 s26, 0, s27
	s_add_u32 s27, s0, s1
	s_cselect_b64 s[0:1], -1, 0
	s_cmp_lg_u64 s[0:1], 0
	s_addc_u32 s25, s25, s26
	s_mul_i32 s0, s7, s25
	s_mul_hi_u32 s1, s7, s27
	s_add_i32 s0, s1, s0
	s_mul_i32 s24, s24, s27
	s_add_i32 s0, s0, s24
	s_mul_i32 s7, s7, s27
	s_mul_hi_u32 s24, s25, s7
	s_mul_i32 s26, s25, s7
	s_mul_i32 s29, s27, s0
	s_mul_hi_u32 s7, s27, s7
	s_mul_hi_u32 s28, s27, s0
	s_add_u32 s7, s7, s29
	s_addc_u32 s28, 0, s28
	s_add_u32 s7, s7, s26
	s_mul_hi_u32 s1, s25, s0
	s_addc_u32 s7, s28, s24
	s_addc_u32 s1, s1, 0
	s_mul_i32 s0, s25, s0
	s_add_u32 s0, s7, s0
	s_addc_u32 s7, 0, s1
	s_add_u32 s24, s27, s0
	s_cselect_b64 s[0:1], -1, 0
	s_cmp_lg_u64 s[0:1], 0
	v_add_co_u32_e32 v0, vcc, v4, v10
	s_addc_u32 s7, s25, s7
	v_xor_b32_e32 v6, v0, v10
	v_mad_u64_u32 v[0:1], s[0:1], v6, s7, 0
	v_mul_hi_u32 v3, v6, s24
	v_addc_co_u32_e32 v2, vcc, v5, v10, vcc
	v_xor_b32_e32 v7, v2, v10
	v_add_co_u32_e32 v8, vcc, v3, v0
	v_addc_co_u32_e32 v9, vcc, 0, v1, vcc
	v_mad_u64_u32 v[0:1], s[0:1], v7, s24, 0
	v_mad_u64_u32 v[2:3], s[0:1], v7, s7, 0
	v_add_co_u32_e32 v0, vcc, v8, v0
	v_addc_co_u32_e32 v0, vcc, v9, v1, vcc
	v_addc_co_u32_e32 v1, vcc, 0, v3, vcc
	v_add_co_u32_e32 v2, vcc, v0, v2
	v_addc_co_u32_e32 v3, vcc, 0, v1, vcc
	v_mul_lo_u32 v8, s13, v2
	v_mul_lo_u32 v9, s12, v3
	v_mad_u64_u32 v[0:1], s[0:1], s12, v2, 0
	v_add3_u32 v1, v1, v9, v8
	v_sub_u32_e32 v8, v7, v1
	v_mov_b32_e32 v9, s13
	v_sub_co_u32_e32 v0, vcc, v6, v0
	v_subb_co_u32_e64 v6, s[0:1], v8, v9, vcc
	v_subrev_co_u32_e64 v8, s[0:1], s12, v0
	v_subbrev_co_u32_e64 v6, s[0:1], 0, v6, s[0:1]
	v_cmp_le_u32_e64 s[0:1], s13, v6
	v_cndmask_b32_e64 v9, 0, -1, s[0:1]
	v_cmp_le_u32_e64 s[0:1], s12, v8
	v_cndmask_b32_e64 v8, 0, -1, s[0:1]
	v_cmp_eq_u32_e64 s[0:1], s13, v6
	v_cndmask_b32_e64 v6, v9, v8, s[0:1]
	v_add_co_u32_e64 v8, s[0:1], 2, v2
	v_subb_co_u32_e32 v1, vcc, v7, v1, vcc
	v_addc_co_u32_e64 v9, s[0:1], 0, v3, s[0:1]
	v_cmp_le_u32_e32 vcc, s13, v1
	v_add_co_u32_e64 v11, s[0:1], 1, v2
	v_cndmask_b32_e64 v7, 0, -1, vcc
	v_cmp_le_u32_e32 vcc, s12, v0
	v_addc_co_u32_e64 v12, s[0:1], 0, v3, s[0:1]
	v_cndmask_b32_e64 v0, 0, -1, vcc
	v_cmp_eq_u32_e32 vcc, s13, v1
	v_cmp_ne_u32_e64 s[0:1], 0, v6
	v_cndmask_b32_e32 v0, v7, v0, vcc
	v_cndmask_b32_e64 v6, v12, v9, s[0:1]
	v_cmp_ne_u32_e32 vcc, 0, v0
	v_cndmask_b32_e64 v1, v11, v8, s[0:1]
	v_cndmask_b32_e32 v0, v3, v6, vcc
	v_cndmask_b32_e32 v1, v2, v1, vcc
	v_xor_b32_e32 v2, s6, v10
	v_xor_b32_e32 v3, v0, v2
	;; [unrolled: 1-line block ×3, first 2 shown]
	v_sub_co_u32_e32 v0, vcc, v0, v2
	v_subb_co_u32_e32 v1, vcc, v3, v2, vcc
.LBB0_3:
	s_andn2_saveexec_b64 s[0:1], s[2:3]
	s_cbranch_execz .LBB0_5
; %bb.4:
	v_cvt_f32_u32_e32 v0, s18
	s_sub_i32 s2, 0, s18
	v_rcp_iflag_f32_e32 v0, v0
	v_mul_f32_e32 v0, 0x4f7ffffe, v0
	v_cvt_u32_f32_e32 v0, v0
	v_mul_lo_u32 v1, s2, v0
	v_mul_hi_u32 v1, v0, v1
	v_add_u32_e32 v0, v0, v1
	v_mul_hi_u32 v0, v4, v0
	v_mul_lo_u32 v1, v0, s18
	v_add_u32_e32 v2, 1, v0
	v_sub_u32_e32 v1, v4, v1
	v_subrev_u32_e32 v3, s18, v1
	v_cmp_le_u32_e32 vcc, s18, v1
	v_cndmask_b32_e32 v1, v1, v3, vcc
	v_cndmask_b32_e32 v0, v0, v2, vcc
	v_add_u32_e32 v2, 1, v0
	v_cmp_le_u32_e32 vcc, s18, v1
	v_cndmask_b32_e32 v0, v0, v2, vcc
	v_mov_b32_e32 v1, 0
.LBB0_5:
	s_or_b64 exec, exec, s[0:1]
	v_mul_lo_u32 v6, s19, v0
	v_mul_lo_u32 v7, s18, v1
	v_mad_u64_u32 v[2:3], s[0:1], s18, v0, 0
	v_add3_u32 v3, v3, v7, v6
	v_sub_co_u32_e32 v6, vcc, v4, v2
	v_subb_co_u32_e32 v7, vcc, v5, v3, vcc
	v_or_b32_e32 v3, s17, v7
	v_mov_b32_e32 v2, 0
	v_cmp_ne_u64_e32 vcc, 0, v[2:3]
                                        ; implicit-def: $vgpr2_vgpr3
	s_and_saveexec_b64 s[0:1], vcc
	s_xor_b64 s[2:3], exec, s[0:1]
	s_cbranch_execz .LBB0_7
; %bb.6:
	s_ashr_i32 s6, s17, 31
	s_add_u32 s0, s16, s6
	s_mov_b32 s7, s6
	s_addc_u32 s1, s17, s6
	s_xor_b64 s[12:13], s[0:1], s[6:7]
	v_cvt_f32_u32_e32 v2, s12
	v_cvt_f32_u32_e32 v3, s13
	s_sub_u32 s7, 0, s12
	s_subb_u32 s18, 0, s13
	v_ashrrev_i32_e32 v11, 31, v7
	v_madmk_f32 v2, v3, 0x4f800000, v2
	v_rcp_f32_e32 v2, v2
	v_mul_f32_e32 v2, 0x5f7ffffc, v2
	v_mul_f32_e32 v3, 0x2f800000, v2
	v_trunc_f32_e32 v3, v3
	v_madmk_f32 v2, v3, 0xcf800000, v2
	v_cvt_u32_f32_e32 v3, v3
	v_cvt_u32_f32_e32 v2, v2
	v_readfirstlane_b32 s19, v3
	v_readfirstlane_b32 s0, v2
	s_mul_i32 s1, s7, s19
	s_mul_hi_u32 s25, s7, s0
	s_mul_i32 s24, s18, s0
	s_add_i32 s1, s25, s1
	s_add_i32 s1, s1, s24
	s_mul_i32 s26, s7, s0
	s_mul_i32 s25, s0, s1
	s_mul_hi_u32 s27, s0, s26
	s_mul_hi_u32 s24, s0, s1
	s_add_u32 s25, s27, s25
	s_addc_u32 s24, 0, s24
	s_mul_hi_u32 s28, s19, s26
	s_mul_i32 s26, s19, s26
	s_add_u32 s25, s25, s26
	s_mul_hi_u32 s27, s19, s1
	s_addc_u32 s24, s24, s28
	s_addc_u32 s25, s27, 0
	s_mul_i32 s1, s19, s1
	s_add_u32 s1, s24, s1
	s_addc_u32 s24, 0, s25
	s_add_u32 s25, s0, s1
	s_cselect_b64 s[0:1], -1, 0
	s_cmp_lg_u64 s[0:1], 0
	s_addc_u32 s19, s19, s24
	s_mul_i32 s0, s7, s19
	s_mul_hi_u32 s1, s7, s25
	s_add_i32 s0, s1, s0
	s_mul_i32 s18, s18, s25
	s_add_i32 s0, s0, s18
	s_mul_i32 s7, s7, s25
	s_mul_hi_u32 s18, s19, s7
	s_mul_i32 s24, s19, s7
	s_mul_i32 s27, s25, s0
	s_mul_hi_u32 s7, s25, s7
	s_mul_hi_u32 s26, s25, s0
	s_add_u32 s7, s7, s27
	s_addc_u32 s26, 0, s26
	s_add_u32 s7, s7, s24
	s_mul_hi_u32 s1, s19, s0
	s_addc_u32 s7, s26, s18
	s_addc_u32 s1, s1, 0
	s_mul_i32 s0, s19, s0
	s_add_u32 s0, s7, s0
	s_addc_u32 s7, 0, s1
	s_add_u32 s18, s25, s0
	s_cselect_b64 s[0:1], -1, 0
	s_cmp_lg_u64 s[0:1], 0
	v_add_co_u32_e32 v2, vcc, v6, v11
	s_addc_u32 s7, s19, s7
	v_xor_b32_e32 v12, v2, v11
	v_mad_u64_u32 v[2:3], s[0:1], v12, s7, 0
	v_mul_hi_u32 v9, v12, s18
	v_addc_co_u32_e32 v8, vcc, v7, v11, vcc
	v_xor_b32_e32 v13, v8, v11
	v_add_co_u32_e32 v14, vcc, v9, v2
	v_addc_co_u32_e32 v15, vcc, 0, v3, vcc
	v_mad_u64_u32 v[2:3], s[0:1], v13, s18, 0
	v_mad_u64_u32 v[8:9], s[0:1], v13, s7, 0
	v_add_co_u32_e32 v2, vcc, v14, v2
	v_addc_co_u32_e32 v2, vcc, v15, v3, vcc
	v_addc_co_u32_e32 v3, vcc, 0, v9, vcc
	v_add_co_u32_e32 v8, vcc, v2, v8
	v_addc_co_u32_e32 v9, vcc, 0, v3, vcc
	v_mul_lo_u32 v14, s13, v8
	v_mul_lo_u32 v15, s12, v9
	v_mad_u64_u32 v[2:3], s[0:1], s12, v8, 0
	v_add3_u32 v3, v3, v15, v14
	v_sub_u32_e32 v14, v13, v3
	v_mov_b32_e32 v15, s13
	v_sub_co_u32_e32 v2, vcc, v12, v2
	v_subb_co_u32_e64 v12, s[0:1], v14, v15, vcc
	v_subrev_co_u32_e64 v14, s[0:1], s12, v2
	v_subbrev_co_u32_e64 v12, s[0:1], 0, v12, s[0:1]
	v_cmp_le_u32_e64 s[0:1], s13, v12
	v_cndmask_b32_e64 v15, 0, -1, s[0:1]
	v_cmp_le_u32_e64 s[0:1], s12, v14
	v_cndmask_b32_e64 v14, 0, -1, s[0:1]
	v_cmp_eq_u32_e64 s[0:1], s13, v12
	v_cndmask_b32_e64 v12, v15, v14, s[0:1]
	v_add_co_u32_e64 v14, s[0:1], 2, v8
	v_subb_co_u32_e32 v3, vcc, v13, v3, vcc
	v_addc_co_u32_e64 v15, s[0:1], 0, v9, s[0:1]
	v_cmp_le_u32_e32 vcc, s13, v3
	v_add_co_u32_e64 v16, s[0:1], 1, v8
	v_cndmask_b32_e64 v13, 0, -1, vcc
	v_cmp_le_u32_e32 vcc, s12, v2
	v_addc_co_u32_e64 v17, s[0:1], 0, v9, s[0:1]
	v_cndmask_b32_e64 v2, 0, -1, vcc
	v_cmp_eq_u32_e32 vcc, s13, v3
	v_cmp_ne_u32_e64 s[0:1], 0, v12
	v_cndmask_b32_e32 v2, v13, v2, vcc
	v_cndmask_b32_e64 v12, v17, v15, s[0:1]
	v_cmp_ne_u32_e32 vcc, 0, v2
	v_cndmask_b32_e64 v3, v16, v14, s[0:1]
	v_cndmask_b32_e32 v2, v9, v12, vcc
	v_cndmask_b32_e32 v3, v8, v3, vcc
	v_xor_b32_e32 v8, s6, v11
	v_xor_b32_e32 v9, v2, v8
	;; [unrolled: 1-line block ×3, first 2 shown]
	v_sub_co_u32_e32 v2, vcc, v2, v8
	v_subb_co_u32_e32 v3, vcc, v9, v8, vcc
.LBB0_7:
	s_andn2_saveexec_b64 s[0:1], s[2:3]
	s_cbranch_execz .LBB0_9
; %bb.8:
	v_cvt_f32_u32_e32 v2, s16
	s_sub_i32 s2, 0, s16
	v_rcp_iflag_f32_e32 v2, v2
	v_mul_f32_e32 v2, 0x4f7ffffe, v2
	v_cvt_u32_f32_e32 v2, v2
	v_mul_lo_u32 v3, s2, v2
	v_mul_hi_u32 v3, v2, v3
	v_add_u32_e32 v2, v2, v3
	v_mul_hi_u32 v2, v6, v2
	v_mul_lo_u32 v3, v2, s16
	v_add_u32_e32 v8, 1, v2
	v_sub_u32_e32 v3, v6, v3
	v_subrev_u32_e32 v9, s16, v3
	v_cmp_le_u32_e32 vcc, s16, v3
	v_cndmask_b32_e32 v3, v3, v9, vcc
	v_cndmask_b32_e32 v2, v2, v8, vcc
	v_add_u32_e32 v8, 1, v2
	v_cmp_le_u32_e32 vcc, s16, v3
	v_cndmask_b32_e32 v2, v2, v8, vcc
	v_mov_b32_e32 v3, 0
.LBB0_9:
	s_or_b64 exec, exec, s[0:1]
	v_mul_lo_u32 v11, s17, v2
	v_mul_lo_u32 v12, s16, v3
	v_mad_u64_u32 v[8:9], s[0:1], s16, v2, 0
	v_add3_u32 v9, v9, v12, v11
	v_sub_co_u32_e32 v12, vcc, v6, v8
	v_subb_co_u32_e32 v13, vcc, v7, v9, vcc
	v_or_b32_e32 v7, s15, v13
	v_mov_b32_e32 v6, 0
	v_cmp_ne_u64_e32 vcc, 0, v[6:7]
                                        ; implicit-def: $vgpr6_vgpr7
	s_and_saveexec_b64 s[0:1], vcc
	s_xor_b64 s[2:3], exec, s[0:1]
	s_cbranch_execz .LBB0_11
; %bb.10:
	s_ashr_i32 s6, s15, 31
	s_add_u32 s0, s14, s6
	s_mov_b32 s7, s6
	s_addc_u32 s1, s15, s6
	s_xor_b64 s[12:13], s[0:1], s[6:7]
	v_cvt_f32_u32_e32 v6, s12
	v_cvt_f32_u32_e32 v7, s13
	s_sub_u32 s7, 0, s12
	s_subb_u32 s16, 0, s13
	v_ashrrev_i32_e32 v11, 31, v13
	v_madmk_f32 v6, v7, 0x4f800000, v6
	v_rcp_f32_e32 v6, v6
	v_mul_f32_e32 v6, 0x5f7ffffc, v6
	v_mul_f32_e32 v7, 0x2f800000, v6
	v_trunc_f32_e32 v7, v7
	v_madmk_f32 v6, v7, 0xcf800000, v6
	v_cvt_u32_f32_e32 v7, v7
	v_cvt_u32_f32_e32 v6, v6
	v_readfirstlane_b32 s17, v7
	v_readfirstlane_b32 s0, v6
	s_mul_i32 s1, s7, s17
	s_mul_hi_u32 s19, s7, s0
	s_mul_i32 s18, s16, s0
	s_add_i32 s1, s19, s1
	s_add_i32 s1, s1, s18
	s_mul_i32 s24, s7, s0
	s_mul_i32 s19, s0, s1
	s_mul_hi_u32 s25, s0, s24
	s_mul_hi_u32 s18, s0, s1
	s_add_u32 s19, s25, s19
	s_addc_u32 s18, 0, s18
	s_mul_hi_u32 s26, s17, s24
	s_mul_i32 s24, s17, s24
	s_add_u32 s19, s19, s24
	s_mul_hi_u32 s25, s17, s1
	s_addc_u32 s18, s18, s26
	s_addc_u32 s19, s25, 0
	s_mul_i32 s1, s17, s1
	s_add_u32 s1, s18, s1
	s_addc_u32 s18, 0, s19
	s_add_u32 s19, s0, s1
	s_cselect_b64 s[0:1], -1, 0
	s_cmp_lg_u64 s[0:1], 0
	s_addc_u32 s17, s17, s18
	s_mul_i32 s0, s7, s17
	s_mul_hi_u32 s1, s7, s19
	s_add_i32 s0, s1, s0
	s_mul_i32 s16, s16, s19
	s_add_i32 s0, s0, s16
	s_mul_i32 s7, s7, s19
	s_mul_hi_u32 s16, s17, s7
	s_mul_i32 s18, s17, s7
	s_mul_i32 s25, s19, s0
	s_mul_hi_u32 s7, s19, s7
	s_mul_hi_u32 s24, s19, s0
	s_add_u32 s7, s7, s25
	s_addc_u32 s24, 0, s24
	s_add_u32 s7, s7, s18
	s_mul_hi_u32 s1, s17, s0
	s_addc_u32 s7, s24, s16
	s_addc_u32 s1, s1, 0
	s_mul_i32 s0, s17, s0
	s_add_u32 s0, s7, s0
	s_addc_u32 s7, 0, s1
	s_add_u32 s16, s19, s0
	s_cselect_b64 s[0:1], -1, 0
	s_cmp_lg_u64 s[0:1], 0
	v_add_co_u32_e32 v6, vcc, v12, v11
	s_addc_u32 s7, s17, s7
	v_xor_b32_e32 v14, v6, v11
	v_mad_u64_u32 v[6:7], s[0:1], v14, s7, 0
	v_mul_hi_u32 v9, v14, s16
	v_addc_co_u32_e32 v8, vcc, v13, v11, vcc
	v_xor_b32_e32 v15, v8, v11
	v_add_co_u32_e32 v16, vcc, v9, v6
	v_addc_co_u32_e32 v17, vcc, 0, v7, vcc
	v_mad_u64_u32 v[6:7], s[0:1], v15, s16, 0
	v_mad_u64_u32 v[8:9], s[0:1], v15, s7, 0
	v_add_co_u32_e32 v6, vcc, v16, v6
	v_addc_co_u32_e32 v6, vcc, v17, v7, vcc
	v_addc_co_u32_e32 v7, vcc, 0, v9, vcc
	v_add_co_u32_e32 v8, vcc, v6, v8
	v_addc_co_u32_e32 v9, vcc, 0, v7, vcc
	v_mul_lo_u32 v16, s13, v8
	v_mul_lo_u32 v17, s12, v9
	v_mad_u64_u32 v[6:7], s[0:1], s12, v8, 0
	v_add3_u32 v7, v7, v17, v16
	v_sub_u32_e32 v16, v15, v7
	v_mov_b32_e32 v17, s13
	v_sub_co_u32_e32 v6, vcc, v14, v6
	v_subb_co_u32_e64 v14, s[0:1], v16, v17, vcc
	v_subrev_co_u32_e64 v16, s[0:1], s12, v6
	v_subbrev_co_u32_e64 v14, s[0:1], 0, v14, s[0:1]
	v_cmp_le_u32_e64 s[0:1], s13, v14
	v_cndmask_b32_e64 v17, 0, -1, s[0:1]
	v_cmp_le_u32_e64 s[0:1], s12, v16
	v_cndmask_b32_e64 v16, 0, -1, s[0:1]
	v_cmp_eq_u32_e64 s[0:1], s13, v14
	v_cndmask_b32_e64 v14, v17, v16, s[0:1]
	v_add_co_u32_e64 v16, s[0:1], 2, v8
	v_subb_co_u32_e32 v7, vcc, v15, v7, vcc
	v_addc_co_u32_e64 v17, s[0:1], 0, v9, s[0:1]
	v_cmp_le_u32_e32 vcc, s13, v7
	v_add_co_u32_e64 v18, s[0:1], 1, v8
	v_cndmask_b32_e64 v15, 0, -1, vcc
	v_cmp_le_u32_e32 vcc, s12, v6
	v_addc_co_u32_e64 v19, s[0:1], 0, v9, s[0:1]
	v_cndmask_b32_e64 v6, 0, -1, vcc
	v_cmp_eq_u32_e32 vcc, s13, v7
	v_cmp_ne_u32_e64 s[0:1], 0, v14
	v_cndmask_b32_e32 v6, v15, v6, vcc
	v_cndmask_b32_e64 v14, v19, v17, s[0:1]
	v_cmp_ne_u32_e32 vcc, 0, v6
	v_cndmask_b32_e64 v7, v18, v16, s[0:1]
	v_cndmask_b32_e32 v6, v9, v14, vcc
	v_cndmask_b32_e32 v7, v8, v7, vcc
	v_xor_b32_e32 v8, s6, v11
	v_xor_b32_e32 v9, v6, v8
	;; [unrolled: 1-line block ×3, first 2 shown]
	v_sub_co_u32_e32 v6, vcc, v6, v8
	v_subb_co_u32_e32 v7, vcc, v9, v8, vcc
.LBB0_11:
	s_andn2_saveexec_b64 s[0:1], s[2:3]
	s_cbranch_execz .LBB0_13
; %bb.12:
	v_cvt_f32_u32_e32 v6, s14
	s_sub_i32 s2, 0, s14
	v_rcp_iflag_f32_e32 v6, v6
	v_mul_f32_e32 v6, 0x4f7ffffe, v6
	v_cvt_u32_f32_e32 v6, v6
	v_mul_lo_u32 v7, s2, v6
	v_mul_hi_u32 v7, v6, v7
	v_add_u32_e32 v6, v6, v7
	v_mul_hi_u32 v6, v12, v6
	v_mul_lo_u32 v7, v6, s14
	v_add_u32_e32 v8, 1, v6
	v_sub_u32_e32 v7, v12, v7
	v_subrev_u32_e32 v9, s14, v7
	v_cmp_le_u32_e32 vcc, s14, v7
	v_cndmask_b32_e32 v7, v7, v9, vcc
	v_cndmask_b32_e32 v6, v6, v8, vcc
	v_add_u32_e32 v8, 1, v6
	v_cmp_le_u32_e32 vcc, s14, v7
	v_cndmask_b32_e32 v6, v6, v8, vcc
	v_mov_b32_e32 v7, 0
.LBB0_13:
	s_or_b64 exec, exec, s[0:1]
	s_load_dwordx16 s[36:51], s[4:5], 0x40
	v_mov_b32_e32 v8, 0
	s_waitcnt lgkmcnt(0)
	s_mul_i32 s0, s42, s41
	s_mul_hi_u32 s1, s42, s40
	s_mul_i32 s2, s43, s40
	s_mul_i32 s16, s42, s40
	s_add_i32 s17, s1, s0
	s_mul_i32 s0, s16, s45
	s_add_i32 s17, s17, s2
	s_mul_hi_u32 s1, s16, s44
	s_add_i32 s0, s1, s0
	s_mul_i32 s1, s17, s44
	s_add_i32 s18, s0, s1
	v_or_b32_e32 v9, s18, v5
	v_cmp_ne_u64_e32 vcc, 0, v[8:9]
	s_mul_i32 s19, s16, s44
                                        ; implicit-def: $vgpr8_vgpr9
	s_and_saveexec_b64 s[0:1], vcc
	s_xor_b64 s[2:3], exec, s[0:1]
	s_cbranch_execz .LBB0_15
; %bb.14:
	s_ashr_i32 s6, s18, 31
	s_add_u32 s0, s19, s6
	s_mov_b32 s7, s6
	s_addc_u32 s1, s18, s6
	s_xor_b64 s[12:13], s[0:1], s[6:7]
	v_cvt_f32_u32_e32 v8, s12
	v_cvt_f32_u32_e32 v9, s13
	s_sub_u32 s7, 0, s12
	s_subb_u32 s24, 0, s13
	v_madmk_f32 v8, v9, 0x4f800000, v8
	v_rcp_f32_e32 v8, v8
	v_mul_f32_e32 v8, 0x5f7ffffc, v8
	v_mul_f32_e32 v9, 0x2f800000, v8
	v_trunc_f32_e32 v9, v9
	v_madmk_f32 v8, v9, 0xcf800000, v8
	v_cvt_u32_f32_e32 v9, v9
	v_cvt_u32_f32_e32 v8, v8
	v_readfirstlane_b32 s25, v9
	v_readfirstlane_b32 s0, v8
	s_mul_i32 s1, s7, s25
	s_mul_hi_u32 s27, s7, s0
	s_mul_i32 s26, s24, s0
	s_add_i32 s1, s27, s1
	s_add_i32 s1, s1, s26
	s_mul_i32 s28, s7, s0
	s_mul_i32 s27, s0, s1
	s_mul_hi_u32 s29, s0, s28
	s_mul_hi_u32 s26, s0, s1
	s_add_u32 s27, s29, s27
	s_addc_u32 s26, 0, s26
	s_mul_hi_u32 s30, s25, s28
	s_mul_i32 s28, s25, s28
	s_add_u32 s27, s27, s28
	s_mul_hi_u32 s29, s25, s1
	s_addc_u32 s26, s26, s30
	s_addc_u32 s27, s29, 0
	s_mul_i32 s1, s25, s1
	s_add_u32 s1, s26, s1
	s_addc_u32 s26, 0, s27
	s_add_u32 s27, s0, s1
	s_cselect_b64 s[0:1], -1, 0
	s_cmp_lg_u64 s[0:1], 0
	s_addc_u32 s25, s25, s26
	s_mul_i32 s0, s7, s25
	s_mul_hi_u32 s1, s7, s27
	s_add_i32 s0, s1, s0
	s_mul_i32 s24, s24, s27
	s_add_i32 s0, s0, s24
	s_mul_i32 s7, s7, s27
	s_mul_hi_u32 s24, s25, s7
	s_mul_i32 s26, s25, s7
	s_mul_i32 s29, s27, s0
	s_mul_hi_u32 s7, s27, s7
	s_mul_hi_u32 s28, s27, s0
	s_add_u32 s7, s7, s29
	s_addc_u32 s28, 0, s28
	s_add_u32 s7, s7, s26
	s_mul_hi_u32 s1, s25, s0
	s_addc_u32 s7, s28, s24
	s_addc_u32 s1, s1, 0
	s_mul_i32 s0, s25, s0
	s_add_u32 s0, s7, s0
	s_addc_u32 s7, 0, s1
	s_add_u32 s24, s27, s0
	s_cselect_b64 s[0:1], -1, 0
	s_cmp_lg_u64 s[0:1], 0
	v_add_co_u32_e32 v8, vcc, v4, v10
	s_addc_u32 s7, s25, s7
	v_xor_b32_e32 v16, v8, v10
	v_mad_u64_u32 v[8:9], s[0:1], v16, s7, 0
	v_mul_hi_u32 v14, v16, s24
	v_addc_co_u32_e32 v11, vcc, v5, v10, vcc
	v_xor_b32_e32 v11, v11, v10
	v_add_co_u32_e32 v17, vcc, v14, v8
	v_addc_co_u32_e32 v18, vcc, 0, v9, vcc
	v_mad_u64_u32 v[8:9], s[0:1], v11, s24, 0
	v_mad_u64_u32 v[14:15], s[0:1], v11, s7, 0
	v_add_co_u32_e32 v8, vcc, v17, v8
	v_addc_co_u32_e32 v8, vcc, v18, v9, vcc
	v_addc_co_u32_e32 v9, vcc, 0, v15, vcc
	v_add_co_u32_e32 v14, vcc, v8, v14
	v_addc_co_u32_e32 v15, vcc, 0, v9, vcc
	v_mul_lo_u32 v17, s13, v14
	v_mul_lo_u32 v18, s12, v15
	v_mad_u64_u32 v[8:9], s[0:1], s12, v14, 0
	v_xor_b32_e32 v10, s6, v10
	v_add3_u32 v9, v9, v18, v17
	v_sub_u32_e32 v17, v11, v9
	v_mov_b32_e32 v18, s13
	v_sub_co_u32_e32 v8, vcc, v16, v8
	v_subb_co_u32_e64 v16, s[0:1], v17, v18, vcc
	v_subrev_co_u32_e64 v17, s[0:1], s12, v8
	v_subbrev_co_u32_e64 v16, s[0:1], 0, v16, s[0:1]
	v_cmp_le_u32_e64 s[0:1], s13, v16
	v_cndmask_b32_e64 v18, 0, -1, s[0:1]
	v_cmp_le_u32_e64 s[0:1], s12, v17
	v_cndmask_b32_e64 v17, 0, -1, s[0:1]
	v_cmp_eq_u32_e64 s[0:1], s13, v16
	v_cndmask_b32_e64 v16, v18, v17, s[0:1]
	v_add_co_u32_e64 v17, s[0:1], 2, v14
	v_subb_co_u32_e32 v9, vcc, v11, v9, vcc
	v_addc_co_u32_e64 v18, s[0:1], 0, v15, s[0:1]
	v_cmp_le_u32_e32 vcc, s13, v9
	v_add_co_u32_e64 v19, s[0:1], 1, v14
	v_cndmask_b32_e64 v11, 0, -1, vcc
	v_cmp_le_u32_e32 vcc, s12, v8
	v_addc_co_u32_e64 v20, s[0:1], 0, v15, s[0:1]
	v_cndmask_b32_e64 v8, 0, -1, vcc
	v_cmp_eq_u32_e32 vcc, s13, v9
	v_cmp_ne_u32_e64 s[0:1], 0, v16
	v_cndmask_b32_e32 v8, v11, v8, vcc
	v_cndmask_b32_e64 v16, v20, v18, s[0:1]
	v_cmp_ne_u32_e32 vcc, 0, v8
	v_cndmask_b32_e64 v9, v19, v17, s[0:1]
	v_cndmask_b32_e32 v8, v15, v16, vcc
	v_cndmask_b32_e32 v9, v14, v9, vcc
	v_xor_b32_e32 v11, v8, v10
	v_xor_b32_e32 v8, v9, v10
	v_sub_co_u32_e32 v8, vcc, v8, v10
	v_subb_co_u32_e32 v9, vcc, v11, v10, vcc
.LBB0_15:
	s_andn2_saveexec_b64 s[0:1], s[2:3]
	s_cbranch_execz .LBB0_17
; %bb.16:
	v_cvt_f32_u32_e32 v8, s19
	s_sub_i32 s2, 0, s19
	v_rcp_iflag_f32_e32 v8, v8
	v_mul_f32_e32 v8, 0x4f7ffffe, v8
	v_cvt_u32_f32_e32 v8, v8
	v_mul_lo_u32 v9, s2, v8
	v_mul_hi_u32 v9, v8, v9
	v_add_u32_e32 v8, v8, v9
	v_mul_hi_u32 v8, v4, v8
	v_mul_lo_u32 v9, v8, s19
	v_add_u32_e32 v10, 1, v8
	v_sub_u32_e32 v9, v4, v9
	v_subrev_u32_e32 v11, s19, v9
	v_cmp_le_u32_e32 vcc, s19, v9
	v_cndmask_b32_e32 v9, v9, v11, vcc
	v_cndmask_b32_e32 v8, v8, v10, vcc
	v_add_u32_e32 v10, 1, v8
	v_cmp_le_u32_e32 vcc, s19, v9
	v_cndmask_b32_e32 v8, v8, v10, vcc
	v_mov_b32_e32 v9, 0
.LBB0_17:
	s_or_b64 exec, exec, s[0:1]
	v_mul_lo_u32 v14, s18, v8
	v_mul_lo_u32 v15, s19, v9
	v_mad_u64_u32 v[10:11], s[0:1], s19, v8, 0
	v_add3_u32 v11, v11, v15, v14
	v_sub_co_u32_e32 v10, vcc, v4, v10
	v_subb_co_u32_e32 v11, vcc, v5, v11, vcc
	v_or_b32_e32 v5, s17, v11
	v_mov_b32_e32 v4, 0
	v_cmp_ne_u64_e32 vcc, 0, v[4:5]
                                        ; implicit-def: $vgpr4_vgpr5
	s_and_saveexec_b64 s[0:1], vcc
	s_xor_b64 s[2:3], exec, s[0:1]
	s_cbranch_execz .LBB0_19
; %bb.18:
	s_ashr_i32 s6, s17, 31
	s_add_u32 s0, s16, s6
	s_mov_b32 s7, s6
	s_addc_u32 s1, s17, s6
	s_xor_b64 s[12:13], s[0:1], s[6:7]
	v_cvt_f32_u32_e32 v4, s12
	v_cvt_f32_u32_e32 v5, s13
	s_sub_u32 s7, 0, s12
	s_subb_u32 s18, 0, s13
	v_ashrrev_i32_e32 v16, 31, v11
	v_madmk_f32 v4, v5, 0x4f800000, v4
	v_rcp_f32_e32 v4, v4
	v_mul_f32_e32 v4, 0x5f7ffffc, v4
	v_mul_f32_e32 v5, 0x2f800000, v4
	v_trunc_f32_e32 v5, v5
	v_madmk_f32 v4, v5, 0xcf800000, v4
	v_cvt_u32_f32_e32 v5, v5
	v_cvt_u32_f32_e32 v4, v4
	v_readfirstlane_b32 s19, v5
	v_readfirstlane_b32 s0, v4
	s_mul_i32 s1, s7, s19
	s_mul_hi_u32 s25, s7, s0
	s_mul_i32 s24, s18, s0
	s_add_i32 s1, s25, s1
	s_add_i32 s1, s1, s24
	s_mul_i32 s26, s7, s0
	s_mul_i32 s25, s0, s1
	s_mul_hi_u32 s27, s0, s26
	s_mul_hi_u32 s24, s0, s1
	s_add_u32 s25, s27, s25
	s_addc_u32 s24, 0, s24
	s_mul_hi_u32 s28, s19, s26
	s_mul_i32 s26, s19, s26
	s_add_u32 s25, s25, s26
	s_mul_hi_u32 s27, s19, s1
	s_addc_u32 s24, s24, s28
	s_addc_u32 s25, s27, 0
	s_mul_i32 s1, s19, s1
	s_add_u32 s1, s24, s1
	s_addc_u32 s24, 0, s25
	s_add_u32 s25, s0, s1
	s_cselect_b64 s[0:1], -1, 0
	s_cmp_lg_u64 s[0:1], 0
	s_addc_u32 s19, s19, s24
	s_mul_i32 s0, s7, s19
	s_mul_hi_u32 s1, s7, s25
	s_add_i32 s0, s1, s0
	s_mul_i32 s18, s18, s25
	s_add_i32 s0, s0, s18
	s_mul_i32 s7, s7, s25
	s_mul_hi_u32 s18, s19, s7
	s_mul_i32 s24, s19, s7
	s_mul_i32 s27, s25, s0
	s_mul_hi_u32 s7, s25, s7
	s_mul_hi_u32 s26, s25, s0
	s_add_u32 s7, s7, s27
	s_addc_u32 s26, 0, s26
	s_add_u32 s7, s7, s24
	s_mul_hi_u32 s1, s19, s0
	s_addc_u32 s7, s26, s18
	s_addc_u32 s1, s1, 0
	s_mul_i32 s0, s19, s0
	s_add_u32 s0, s7, s0
	s_addc_u32 s7, 0, s1
	s_add_u32 s18, s25, s0
	s_cselect_b64 s[0:1], -1, 0
	s_cmp_lg_u64 s[0:1], 0
	v_add_co_u32_e32 v4, vcc, v10, v16
	s_addc_u32 s7, s19, s7
	v_xor_b32_e32 v17, v4, v16
	v_mad_u64_u32 v[4:5], s[0:1], v17, s7, 0
	v_mul_hi_u32 v15, v17, s18
	v_addc_co_u32_e32 v14, vcc, v11, v16, vcc
	v_xor_b32_e32 v18, v14, v16
	v_add_co_u32_e32 v19, vcc, v15, v4
	v_addc_co_u32_e32 v20, vcc, 0, v5, vcc
	v_mad_u64_u32 v[4:5], s[0:1], v18, s18, 0
	v_mad_u64_u32 v[14:15], s[0:1], v18, s7, 0
	v_add_co_u32_e32 v4, vcc, v19, v4
	v_addc_co_u32_e32 v4, vcc, v20, v5, vcc
	v_addc_co_u32_e32 v5, vcc, 0, v15, vcc
	v_add_co_u32_e32 v14, vcc, v4, v14
	v_addc_co_u32_e32 v15, vcc, 0, v5, vcc
	v_mul_lo_u32 v19, s13, v14
	v_mul_lo_u32 v20, s12, v15
	v_mad_u64_u32 v[4:5], s[0:1], s12, v14, 0
	v_add3_u32 v5, v5, v20, v19
	v_sub_u32_e32 v19, v18, v5
	v_mov_b32_e32 v20, s13
	v_sub_co_u32_e32 v4, vcc, v17, v4
	v_subb_co_u32_e64 v17, s[0:1], v19, v20, vcc
	v_subrev_co_u32_e64 v19, s[0:1], s12, v4
	v_subbrev_co_u32_e64 v17, s[0:1], 0, v17, s[0:1]
	v_cmp_le_u32_e64 s[0:1], s13, v17
	v_cndmask_b32_e64 v20, 0, -1, s[0:1]
	v_cmp_le_u32_e64 s[0:1], s12, v19
	v_cndmask_b32_e64 v19, 0, -1, s[0:1]
	v_cmp_eq_u32_e64 s[0:1], s13, v17
	v_cndmask_b32_e64 v17, v20, v19, s[0:1]
	v_add_co_u32_e64 v19, s[0:1], 2, v14
	v_subb_co_u32_e32 v5, vcc, v18, v5, vcc
	v_addc_co_u32_e64 v20, s[0:1], 0, v15, s[0:1]
	v_cmp_le_u32_e32 vcc, s13, v5
	v_add_co_u32_e64 v21, s[0:1], 1, v14
	v_cndmask_b32_e64 v18, 0, -1, vcc
	v_cmp_le_u32_e32 vcc, s12, v4
	v_addc_co_u32_e64 v22, s[0:1], 0, v15, s[0:1]
	v_cndmask_b32_e64 v4, 0, -1, vcc
	v_cmp_eq_u32_e32 vcc, s13, v5
	v_cmp_ne_u32_e64 s[0:1], 0, v17
	v_cndmask_b32_e32 v4, v18, v4, vcc
	v_cndmask_b32_e64 v17, v22, v20, s[0:1]
	v_cmp_ne_u32_e32 vcc, 0, v4
	v_cndmask_b32_e64 v5, v21, v19, s[0:1]
	v_cndmask_b32_e32 v4, v15, v17, vcc
	v_cndmask_b32_e32 v5, v14, v5, vcc
	v_xor_b32_e32 v14, s6, v16
	v_xor_b32_e32 v15, v4, v14
	;; [unrolled: 1-line block ×3, first 2 shown]
	v_sub_co_u32_e32 v4, vcc, v4, v14
	v_subb_co_u32_e32 v5, vcc, v15, v14, vcc
.LBB0_19:
	s_andn2_saveexec_b64 s[0:1], s[2:3]
	s_cbranch_execz .LBB0_21
; %bb.20:
	v_cvt_f32_u32_e32 v4, s16
	s_sub_i32 s2, 0, s16
	v_rcp_iflag_f32_e32 v4, v4
	v_mul_f32_e32 v4, 0x4f7ffffe, v4
	v_cvt_u32_f32_e32 v4, v4
	v_mul_lo_u32 v5, s2, v4
	v_mul_hi_u32 v5, v4, v5
	v_add_u32_e32 v4, v4, v5
	v_mul_hi_u32 v4, v10, v4
	v_mul_lo_u32 v5, v4, s16
	v_add_u32_e32 v14, 1, v4
	v_sub_u32_e32 v5, v10, v5
	v_subrev_u32_e32 v15, s16, v5
	v_cmp_le_u32_e32 vcc, s16, v5
	v_cndmask_b32_e32 v5, v5, v15, vcc
	v_cndmask_b32_e32 v4, v4, v14, vcc
	v_add_u32_e32 v14, 1, v4
	v_cmp_le_u32_e32 vcc, s16, v5
	v_cndmask_b32_e32 v4, v4, v14, vcc
	v_mov_b32_e32 v5, 0
.LBB0_21:
	s_or_b64 exec, exec, s[0:1]
	v_mul_lo_u32 v16, s17, v4
	v_mul_lo_u32 v17, s16, v5
	v_mad_u64_u32 v[14:15], s[0:1], s16, v4, 0
	v_add3_u32 v15, v15, v17, v16
	v_sub_co_u32_e32 v14, vcc, v10, v14
	v_subb_co_u32_e32 v15, vcc, v11, v15, vcc
	v_or_b32_e32 v11, s41, v15
	v_mov_b32_e32 v10, 0
	v_cmp_ne_u64_e32 vcc, 0, v[10:11]
                                        ; implicit-def: $vgpr10_vgpr11
	s_and_saveexec_b64 s[0:1], vcc
	s_xor_b64 s[2:3], exec, s[0:1]
	s_cbranch_execz .LBB0_23
; %bb.22:
	s_ashr_i32 s6, s41, 31
	s_add_u32 s0, s40, s6
	s_mov_b32 s7, s6
	s_addc_u32 s1, s41, s6
	s_xor_b64 s[12:13], s[0:1], s[6:7]
	v_cvt_f32_u32_e32 v10, s12
	v_cvt_f32_u32_e32 v11, s13
	s_sub_u32 s7, 0, s12
	s_subb_u32 s16, 0, s13
	v_ashrrev_i32_e32 v18, 31, v15
	v_madmk_f32 v10, v11, 0x4f800000, v10
	v_rcp_f32_e32 v10, v10
	v_mul_f32_e32 v10, 0x5f7ffffc, v10
	v_mul_f32_e32 v11, 0x2f800000, v10
	v_trunc_f32_e32 v11, v11
	v_madmk_f32 v10, v11, 0xcf800000, v10
	v_cvt_u32_f32_e32 v11, v11
	v_cvt_u32_f32_e32 v10, v10
	v_readfirstlane_b32 s17, v11
	v_readfirstlane_b32 s0, v10
	s_mul_i32 s1, s7, s17
	s_mul_hi_u32 s19, s7, s0
	s_mul_i32 s18, s16, s0
	s_add_i32 s1, s19, s1
	s_add_i32 s1, s1, s18
	s_mul_i32 s24, s7, s0
	s_mul_i32 s19, s0, s1
	s_mul_hi_u32 s25, s0, s24
	s_mul_hi_u32 s18, s0, s1
	s_add_u32 s19, s25, s19
	s_addc_u32 s18, 0, s18
	s_mul_hi_u32 s26, s17, s24
	s_mul_i32 s24, s17, s24
	s_add_u32 s19, s19, s24
	s_mul_hi_u32 s25, s17, s1
	s_addc_u32 s18, s18, s26
	s_addc_u32 s19, s25, 0
	s_mul_i32 s1, s17, s1
	s_add_u32 s1, s18, s1
	s_addc_u32 s18, 0, s19
	s_add_u32 s19, s0, s1
	s_cselect_b64 s[0:1], -1, 0
	s_cmp_lg_u64 s[0:1], 0
	s_addc_u32 s17, s17, s18
	s_mul_i32 s0, s7, s17
	s_mul_hi_u32 s1, s7, s19
	s_add_i32 s0, s1, s0
	s_mul_i32 s16, s16, s19
	s_add_i32 s0, s0, s16
	s_mul_i32 s7, s7, s19
	s_mul_hi_u32 s16, s17, s7
	s_mul_i32 s18, s17, s7
	s_mul_i32 s25, s19, s0
	s_mul_hi_u32 s7, s19, s7
	s_mul_hi_u32 s24, s19, s0
	s_add_u32 s7, s7, s25
	s_addc_u32 s24, 0, s24
	s_add_u32 s7, s7, s18
	s_mul_hi_u32 s1, s17, s0
	s_addc_u32 s7, s24, s16
	s_addc_u32 s1, s1, 0
	s_mul_i32 s0, s17, s0
	s_add_u32 s0, s7, s0
	s_addc_u32 s7, 0, s1
	s_add_u32 s16, s19, s0
	s_cselect_b64 s[0:1], -1, 0
	s_cmp_lg_u64 s[0:1], 0
	v_add_co_u32_e32 v10, vcc, v14, v18
	s_addc_u32 s7, s17, s7
	v_xor_b32_e32 v19, v10, v18
	v_mad_u64_u32 v[10:11], s[0:1], v19, s7, 0
	v_mul_hi_u32 v17, v19, s16
	v_addc_co_u32_e32 v16, vcc, v15, v18, vcc
	v_xor_b32_e32 v20, v16, v18
	v_add_co_u32_e32 v21, vcc, v17, v10
	v_addc_co_u32_e32 v22, vcc, 0, v11, vcc
	v_mad_u64_u32 v[10:11], s[0:1], v20, s16, 0
	v_mad_u64_u32 v[16:17], s[0:1], v20, s7, 0
	v_add_co_u32_e32 v10, vcc, v21, v10
	v_addc_co_u32_e32 v10, vcc, v22, v11, vcc
	v_addc_co_u32_e32 v11, vcc, 0, v17, vcc
	v_add_co_u32_e32 v16, vcc, v10, v16
	v_addc_co_u32_e32 v17, vcc, 0, v11, vcc
	v_mul_lo_u32 v21, s13, v16
	v_mul_lo_u32 v22, s12, v17
	v_mad_u64_u32 v[10:11], s[0:1], s12, v16, 0
	v_add3_u32 v11, v11, v22, v21
	v_sub_u32_e32 v21, v20, v11
	v_mov_b32_e32 v22, s13
	v_sub_co_u32_e32 v10, vcc, v19, v10
	v_subb_co_u32_e64 v19, s[0:1], v21, v22, vcc
	v_subrev_co_u32_e64 v21, s[0:1], s12, v10
	v_subbrev_co_u32_e64 v19, s[0:1], 0, v19, s[0:1]
	v_cmp_le_u32_e64 s[0:1], s13, v19
	v_cndmask_b32_e64 v22, 0, -1, s[0:1]
	v_cmp_le_u32_e64 s[0:1], s12, v21
	v_cndmask_b32_e64 v21, 0, -1, s[0:1]
	v_cmp_eq_u32_e64 s[0:1], s13, v19
	v_cndmask_b32_e64 v19, v22, v21, s[0:1]
	v_add_co_u32_e64 v21, s[0:1], 2, v16
	v_subb_co_u32_e32 v11, vcc, v20, v11, vcc
	v_addc_co_u32_e64 v22, s[0:1], 0, v17, s[0:1]
	v_cmp_le_u32_e32 vcc, s13, v11
	v_add_co_u32_e64 v23, s[0:1], 1, v16
	v_cndmask_b32_e64 v20, 0, -1, vcc
	v_cmp_le_u32_e32 vcc, s12, v10
	v_addc_co_u32_e64 v24, s[0:1], 0, v17, s[0:1]
	v_cndmask_b32_e64 v10, 0, -1, vcc
	v_cmp_eq_u32_e32 vcc, s13, v11
	v_cmp_ne_u32_e64 s[0:1], 0, v19
	v_cndmask_b32_e32 v10, v20, v10, vcc
	v_cndmask_b32_e64 v19, v24, v22, s[0:1]
	v_cmp_ne_u32_e32 vcc, 0, v10
	v_cndmask_b32_e64 v11, v23, v21, s[0:1]
	v_cndmask_b32_e32 v10, v17, v19, vcc
	v_cndmask_b32_e32 v11, v16, v11, vcc
	v_xor_b32_e32 v16, s6, v18
	v_xor_b32_e32 v17, v10, v16
	;; [unrolled: 1-line block ×3, first 2 shown]
	v_sub_co_u32_e32 v10, vcc, v10, v16
	v_subb_co_u32_e32 v11, vcc, v17, v16, vcc
.LBB0_23:
	s_andn2_saveexec_b64 s[0:1], s[2:3]
	s_cbranch_execz .LBB0_25
; %bb.24:
	v_cvt_f32_u32_e32 v10, s40
	s_sub_i32 s2, 0, s40
	v_rcp_iflag_f32_e32 v10, v10
	v_mul_f32_e32 v10, 0x4f7ffffe, v10
	v_cvt_u32_f32_e32 v10, v10
	v_mul_lo_u32 v11, s2, v10
	v_mul_hi_u32 v11, v10, v11
	v_add_u32_e32 v10, v10, v11
	v_mul_hi_u32 v10, v14, v10
	v_mul_lo_u32 v11, v10, s40
	v_add_u32_e32 v16, 1, v10
	v_sub_u32_e32 v11, v14, v11
	v_subrev_u32_e32 v17, s40, v11
	v_cmp_le_u32_e32 vcc, s40, v11
	v_cndmask_b32_e32 v11, v11, v17, vcc
	v_cndmask_b32_e32 v10, v10, v16, vcc
	v_add_u32_e32 v16, 1, v10
	v_cmp_le_u32_e32 vcc, s40, v11
	v_cndmask_b32_e32 v10, v10, v16, vcc
	v_mov_b32_e32 v11, 0
.LBB0_25:
	s_or_b64 exec, exec, s[0:1]
	v_mul_lo_u32 v18, v7, s14
	v_mul_lo_u32 v19, v6, s15
	v_mad_u64_u32 v[16:17], s[0:1], v6, s14, 0
	v_mul_lo_u32 v22, v11, s40
	v_mul_lo_u32 v23, v10, s41
	v_add3_u32 v17, v17, v19, v18
	v_mad_u64_u32 v[18:19], s[2:3], v10, s40, 0
	v_sub_co_u32_e32 v20, vcc, v12, v16
	v_subb_co_u32_e32 v21, vcc, v13, v17, vcc
	v_add3_u32 v19, v19, v23, v22
	v_sub_co_u32_e32 v14, vcc, v14, v18
	v_subb_co_u32_e32 v15, vcc, v15, v19, vcc
	v_ashrrev_i32_e32 v18, 31, v15
	v_mov_b32_e32 v12, s8
	v_mov_b32_e32 v13, s9
	v_lshrrev_b32_e32 v18, 27, v18
	v_add_co_u32_e32 v14, vcc, v14, v18
	v_mul_lo_u32 v18, v20, s21
	v_mul_lo_u32 v19, v21, s20
	v_mad_u64_u32 v[12:13], s[2:3], v20, s20, v[12:13]
	v_mul_lo_u32 v7, v7, s22
	v_mul_lo_u32 v3, v3, s36
	v_add3_u32 v13, v19, v13, v18
	v_mad_u64_u32 v[12:13], s[2:3], v6, s22, v[12:13]
	v_mul_lo_u32 v6, v6, s23
	v_mul_lo_u32 v1, v1, s38
	v_addc_co_u32_e32 v15, vcc, 0, v15, vcc
	v_add3_u32 v13, v7, v13, v6
	v_mad_u64_u32 v[6:7], s[2:3], v2, s36, v[12:13]
	v_mul_lo_u32 v2, v2, s37
	v_ashrrev_i64 v[14:15], 5, v[14:15]
	v_mov_b32_e32 v16, s10
	v_mov_b32_e32 v17, s11
	v_add3_u32 v7, v3, v7, v2
	v_mad_u64_u32 v[12:13], s[2:3], v0, s38, v[6:7]
	v_mul_lo_u32 v0, v0, s39
	v_mul_lo_u32 v2, v14, s47
	v_mul_lo_u32 v3, v15, s46
	s_load_dwordx2 s[0:1], s[4:5], 0x80
	v_add3_u32 v13, v1, v13, v0
	v_mad_u64_u32 v[0:1], s[2:3], v14, s46, v[16:17]
	global_load_dwordx4 v[16:19], v[12:13], off offset:48
	global_load_dwordx4 v[20:23], v[12:13], off offset:32
	;; [unrolled: 1-line block ×3, first 2 shown]
	global_load_dwordx4 v[28:31], v[12:13], off
	v_add3_u32 v1, v3, v1, v2
	v_mad_u64_u32 v[0:1], s[2:3], v10, s48, v[0:1]
	v_mul_lo_u32 v2, v10, s49
	v_mul_lo_u32 v3, v11, s48
	v_add3_u32 v1, v3, v1, v2
	v_mad_u64_u32 v[0:1], s[2:3], v4, s50, v[0:1]
	v_mul_lo_u32 v2, v4, s51
	v_mul_lo_u32 v3, v5, s50
	v_add3_u32 v1, v3, v1, v2
	s_waitcnt lgkmcnt(0)
	v_mad_u64_u32 v[32:33], s[2:3], v8, s0, v[0:1]
	v_mul_lo_u32 v0, v8, s1
	v_mul_lo_u32 v1, v9, s0
	s_mov_b32 s2, 0x42fe0000
	v_add3_u32 v33, v1, v33, v0
	s_waitcnt vmcnt(0)
	v_max3_f32 v0, |v28|, 0, |v29|
	v_max3_f32 v0, v0, |v30|, |v31|
	v_max3_f32 v0, v0, |v24|, |v25|
	;; [unrolled: 1-line block ×7, first 2 shown]
	global_load_dwordx4 v[0:3], v[12:13], off offset:112
	global_load_dwordx4 v[4:7], v[12:13], off offset:96
	;; [unrolled: 1-line block ×3, first 2 shown]
	s_nop 0
	global_load_dwordx4 v[12:15], v[12:13], off offset:64
	s_waitcnt vmcnt(0)
	v_max3_f32 v34, v34, |v12|, |v13|
	v_max3_f32 v34, v34, |v14|, |v15|
	;; [unrolled: 1-line block ×8, first 2 shown]
	v_div_scale_f32 v35, s[0:1], s2, s2, v34
	v_rcp_f32_e32 v36, v35
	v_fma_f32 v37, -v35, v36, 1.0
	v_fmac_f32_e32 v36, v37, v36
	v_div_scale_f32 v37, vcc, v34, s2, v34
	v_mul_f32_e32 v38, v37, v36
	v_fma_f32 v39, -v35, v38, v37
	v_fmac_f32_e32 v38, v39, v36
	v_fma_f32 v35, -v35, v38, v37
	v_div_fmas_f32 v35, v35, v36, v38
	v_div_fixup_f32 v35, v35, s2, v34
	v_div_scale_f32 v34, s[2:3], v35, v35, 1.0
	v_cmp_neq_f32_e64 s[0:1], 0, v35
	v_rcp_f32_e32 v36, v34
	v_fma_f32 v37, -v34, v36, 1.0
	v_fmac_f32_e32 v36, v37, v36
	v_div_scale_f32 v37, vcc, 1.0, v35, 1.0
	v_mul_f32_e32 v38, v37, v36
	v_fma_f32 v39, -v34, v38, v37
	v_fmac_f32_e32 v38, v39, v36
	v_fma_f32 v34, -v34, v38, v37
	v_div_fmas_f32 v34, v34, v36, v38
	v_div_fixup_f32 v34, v34, v35, 1.0
	v_cvt_f16_f32_e32 v35, v35
	v_cndmask_b32_e64 v34, 0, v34, s[0:1]
	v_mul_f32_e32 v28, v28, v34
	v_mul_f32_e32 v29, v29, v34
	global_store_short v[32:33], v35, off
	v_trunc_f32_e32 v35, v28
	v_sub_f32_e32 v36, v28, v35
	v_cmp_ge_f32_e64 s[0:1], |v36|, 0.5
	v_cndmask_b32_e64 v36, 0, 1.0, s[0:1]
	s_brev_b32 s0, -2
	v_bfi_b32 v28, s0, v36, v28
	v_add_f32_e32 v28, v35, v28
	v_trunc_f32_e32 v35, v29
	v_sub_f32_e32 v36, v29, v35
	v_cmp_ge_f32_e64 s[2:3], |v36|, 0.5
	v_cndmask_b32_e64 v36, 0, 1.0, s[2:3]
	v_bfi_b32 v29, s0, v36, v29
	v_mul_f32_e32 v30, v30, v34
	v_add_f32_e32 v29, v35, v29
	v_trunc_f32_e32 v35, v30
	v_sub_f32_e32 v36, v30, v35
	v_cmp_ge_f32_e64 s[2:3], |v36|, 0.5
	v_cndmask_b32_e64 v36, 0, 1.0, s[2:3]
	v_bfi_b32 v30, s0, v36, v30
	v_mul_f32_e32 v31, v31, v34
	;; [unrolled: 7-line block ×14, first 2 shown]
	v_add_f32_e32 v18, v35, v18
	v_trunc_f32_e32 v35, v19
	v_sub_f32_e32 v36, v19, v35
	v_cmp_ge_f32_e64 s[2:3], |v36|, 0.5
	v_cndmask_b32_e64 v36, 0, 1.0, s[2:3]
	v_bfi_b32 v19, s0, v36, v19
	v_add_f32_e32 v19, v35, v19
	v_cvt_i32_f32_e32 v16, v16
	v_cvt_i32_f32_sdwa v17, v17 dst_sel:BYTE_1 dst_unused:UNUSED_PAD src0_sel:DWORD
	v_cvt_i32_f32_e32 v18, v18
	v_cvt_i32_f32_sdwa v19, v19 dst_sel:BYTE_1 dst_unused:UNUSED_PAD src0_sel:DWORD
	;; [unrolled: 2-line block ×8, first 2 shown]
	v_or_b32_sdwa v16, v16, v17 dst_sel:DWORD dst_unused:UNUSED_PAD src0_sel:BYTE_0 src1_sel:DWORD
	v_or_b32_sdwa v17, v18, v19 dst_sel:WORD_1 dst_unused:UNUSED_PAD src0_sel:BYTE_0 src1_sel:DWORD
	v_or_b32_sdwa v19, v16, v17 dst_sel:DWORD dst_unused:UNUSED_PAD src0_sel:WORD_0 src1_sel:DWORD
	v_or_b32_sdwa v16, v20, v21 dst_sel:DWORD dst_unused:UNUSED_PAD src0_sel:BYTE_0 src1_sel:DWORD
	v_or_b32_sdwa v17, v22, v23 dst_sel:WORD_1 dst_unused:UNUSED_PAD src0_sel:BYTE_0 src1_sel:DWORD
	v_or_b32_sdwa v18, v16, v17 dst_sel:DWORD dst_unused:UNUSED_PAD src0_sel:WORD_0 src1_sel:DWORD
	;; [unrolled: 3-line block ×4, first 2 shown]
	v_mul_f32_e32 v12, v12, v34
	global_store_dwordx4 v[32:33], v[16:19], off offset:2
	v_mul_f32_e32 v13, v13, v34
	v_trunc_f32_e32 v16, v12
	v_sub_f32_e32 v17, v12, v16
	v_cmp_ge_f32_e64 s[2:3], |v17|, 0.5
	v_cndmask_b32_e64 v17, 0, 1.0, s[2:3]
	v_bfi_b32 v12, s0, v17, v12
	v_add_f32_e32 v12, v16, v12
	v_trunc_f32_e32 v16, v13
	v_sub_f32_e32 v17, v13, v16
	v_cmp_ge_f32_e64 s[2:3], |v17|, 0.5
	v_cndmask_b32_e64 v17, 0, 1.0, s[2:3]
	v_bfi_b32 v13, s0, v17, v13
	v_mul_f32_e32 v14, v14, v34
	v_add_f32_e32 v13, v16, v13
	v_trunc_f32_e32 v16, v14
	v_sub_f32_e32 v17, v14, v16
	v_cmp_ge_f32_e64 s[2:3], |v17|, 0.5
	v_cndmask_b32_e64 v17, 0, 1.0, s[2:3]
	v_bfi_b32 v14, s0, v17, v14
	v_mul_f32_e32 v15, v15, v34
	;; [unrolled: 7-line block ×14, first 2 shown]
	v_add_f32_e32 v2, v16, v2
	v_trunc_f32_e32 v16, v3
	v_sub_f32_e32 v17, v3, v16
	v_cmp_ge_f32_e64 s[2:3], |v17|, 0.5
	v_cndmask_b32_e64 v17, 0, 1.0, s[2:3]
	v_bfi_b32 v3, s0, v17, v3
	v_add_f32_e32 v3, v16, v3
	v_cvt_i32_f32_e32 v0, v0
	v_cvt_i32_f32_sdwa v1, v1 dst_sel:BYTE_1 dst_unused:UNUSED_PAD src0_sel:DWORD
	v_cvt_i32_f32_e32 v2, v2
	v_cvt_i32_f32_sdwa v3, v3 dst_sel:BYTE_1 dst_unused:UNUSED_PAD src0_sel:DWORD
	;; [unrolled: 2-line block ×8, first 2 shown]
	v_or_b32_sdwa v0, v0, v1 dst_sel:DWORD dst_unused:UNUSED_PAD src0_sel:BYTE_0 src1_sel:DWORD
	v_or_b32_sdwa v1, v2, v3 dst_sel:WORD_1 dst_unused:UNUSED_PAD src0_sel:BYTE_0 src1_sel:DWORD
	v_or_b32_sdwa v3, v0, v1 dst_sel:DWORD dst_unused:UNUSED_PAD src0_sel:WORD_0 src1_sel:DWORD
	v_or_b32_sdwa v0, v4, v5 dst_sel:DWORD dst_unused:UNUSED_PAD src0_sel:BYTE_0 src1_sel:DWORD
	v_or_b32_sdwa v1, v6, v7 dst_sel:WORD_1 dst_unused:UNUSED_PAD src0_sel:BYTE_0 src1_sel:DWORD
	v_or_b32_sdwa v2, v0, v1 dst_sel:DWORD dst_unused:UNUSED_PAD src0_sel:WORD_0 src1_sel:DWORD
	;; [unrolled: 3-line block ×4, first 2 shown]
	global_store_dwordx4 v[32:33], v[0:3], off offset:18
.LBB0_26:
	s_endpgm
	.section	.rodata,"a",@progbits
	.p2align	6, 0x0
	.amdhsa_kernel _ZL9cpy_f32_qIXadL_ZL17cpy_blck_f32_q8_0PKcPcEELi32EEvS1_S2_lllllllllllllll
		.amdhsa_group_segment_fixed_size 0
		.amdhsa_private_segment_fixed_size 0
		.amdhsa_kernarg_size 392
		.amdhsa_user_sgpr_count 6
		.amdhsa_user_sgpr_private_segment_buffer 1
		.amdhsa_user_sgpr_dispatch_ptr 0
		.amdhsa_user_sgpr_queue_ptr 0
		.amdhsa_user_sgpr_kernarg_segment_ptr 1
		.amdhsa_user_sgpr_dispatch_id 0
		.amdhsa_user_sgpr_flat_scratch_init 0
		.amdhsa_user_sgpr_private_segment_size 0
		.amdhsa_uses_dynamic_stack 0
		.amdhsa_system_sgpr_private_segment_wavefront_offset 0
		.amdhsa_system_sgpr_workgroup_id_x 1
		.amdhsa_system_sgpr_workgroup_id_y 0
		.amdhsa_system_sgpr_workgroup_id_z 0
		.amdhsa_system_sgpr_workgroup_info 0
		.amdhsa_system_vgpr_workitem_id 0
		.amdhsa_next_free_vgpr 40
		.amdhsa_next_free_sgpr 52
		.amdhsa_reserve_vcc 1
		.amdhsa_reserve_flat_scratch 0
		.amdhsa_float_round_mode_32 0
		.amdhsa_float_round_mode_16_64 0
		.amdhsa_float_denorm_mode_32 3
		.amdhsa_float_denorm_mode_16_64 3
		.amdhsa_dx10_clamp 1
		.amdhsa_ieee_mode 1
		.amdhsa_fp16_overflow 0
		.amdhsa_exception_fp_ieee_invalid_op 0
		.amdhsa_exception_fp_denorm_src 0
		.amdhsa_exception_fp_ieee_div_zero 0
		.amdhsa_exception_fp_ieee_overflow 0
		.amdhsa_exception_fp_ieee_underflow 0
		.amdhsa_exception_fp_ieee_inexact 0
		.amdhsa_exception_int_div_zero 0
	.end_amdhsa_kernel
	.section	.text._ZL9cpy_f32_qIXadL_ZL17cpy_blck_f32_q8_0PKcPcEELi32EEvS1_S2_lllllllllllllll,"axG",@progbits,_ZL9cpy_f32_qIXadL_ZL17cpy_blck_f32_q8_0PKcPcEELi32EEvS1_S2_lllllllllllllll,comdat
.Lfunc_end0:
	.size	_ZL9cpy_f32_qIXadL_ZL17cpy_blck_f32_q8_0PKcPcEELi32EEvS1_S2_lllllllllllllll, .Lfunc_end0-_ZL9cpy_f32_qIXadL_ZL17cpy_blck_f32_q8_0PKcPcEELi32EEvS1_S2_lllllllllllllll
                                        ; -- End function
	.set _ZL9cpy_f32_qIXadL_ZL17cpy_blck_f32_q8_0PKcPcEELi32EEvS1_S2_lllllllllllllll.num_vgpr, 40
	.set _ZL9cpy_f32_qIXadL_ZL17cpy_blck_f32_q8_0PKcPcEELi32EEvS1_S2_lllllllllllllll.num_agpr, 0
	.set _ZL9cpy_f32_qIXadL_ZL17cpy_blck_f32_q8_0PKcPcEELi32EEvS1_S2_lllllllllllllll.numbered_sgpr, 52
	.set _ZL9cpy_f32_qIXadL_ZL17cpy_blck_f32_q8_0PKcPcEELi32EEvS1_S2_lllllllllllllll.num_named_barrier, 0
	.set _ZL9cpy_f32_qIXadL_ZL17cpy_blck_f32_q8_0PKcPcEELi32EEvS1_S2_lllllllllllllll.private_seg_size, 0
	.set _ZL9cpy_f32_qIXadL_ZL17cpy_blck_f32_q8_0PKcPcEELi32EEvS1_S2_lllllllllllllll.uses_vcc, 1
	.set _ZL9cpy_f32_qIXadL_ZL17cpy_blck_f32_q8_0PKcPcEELi32EEvS1_S2_lllllllllllllll.uses_flat_scratch, 0
	.set _ZL9cpy_f32_qIXadL_ZL17cpy_blck_f32_q8_0PKcPcEELi32EEvS1_S2_lllllllllllllll.has_dyn_sized_stack, 0
	.set _ZL9cpy_f32_qIXadL_ZL17cpy_blck_f32_q8_0PKcPcEELi32EEvS1_S2_lllllllllllllll.has_recursion, 0
	.set _ZL9cpy_f32_qIXadL_ZL17cpy_blck_f32_q8_0PKcPcEELi32EEvS1_S2_lllllllllllllll.has_indirect_call, 0
	.section	.AMDGPU.csdata,"",@progbits
; Kernel info:
; codeLenInByte = 7276
; TotalNumSgprs: 56
; NumVgprs: 40
; ScratchSize: 0
; MemoryBound: 0
; FloatMode: 240
; IeeeMode: 1
; LDSByteSize: 0 bytes/workgroup (compile time only)
; SGPRBlocks: 6
; VGPRBlocks: 9
; NumSGPRsForWavesPerEU: 56
; NumVGPRsForWavesPerEU: 40
; Occupancy: 6
; WaveLimiterHint : 0
; COMPUTE_PGM_RSRC2:SCRATCH_EN: 0
; COMPUTE_PGM_RSRC2:USER_SGPR: 6
; COMPUTE_PGM_RSRC2:TRAP_HANDLER: 0
; COMPUTE_PGM_RSRC2:TGID_X_EN: 1
; COMPUTE_PGM_RSRC2:TGID_Y_EN: 0
; COMPUTE_PGM_RSRC2:TGID_Z_EN: 0
; COMPUTE_PGM_RSRC2:TIDIG_COMP_CNT: 0
	.section	.text._ZL9cpy_q_f32IXadL_ZL17cpy_blck_q8_0_f32PKcPcEELi32EEvS1_S2_lllllllllllllll,"axG",@progbits,_ZL9cpy_q_f32IXadL_ZL17cpy_blck_q8_0_f32PKcPcEELi32EEvS1_S2_lllllllllllllll,comdat
	.globl	_ZL9cpy_q_f32IXadL_ZL17cpy_blck_q8_0_f32PKcPcEELi32EEvS1_S2_lllllllllllllll ; -- Begin function _ZL9cpy_q_f32IXadL_ZL17cpy_blck_q8_0_f32PKcPcEELi32EEvS1_S2_lllllllllllllll
	.p2align	8
	.type	_ZL9cpy_q_f32IXadL_ZL17cpy_blck_q8_0_f32PKcPcEELi32EEvS1_S2_lllllllllllllll,@function
_ZL9cpy_q_f32IXadL_ZL17cpy_blck_q8_0_f32PKcPcEELi32EEvS1_S2_lllllllllllllll: ; @_ZL9cpy_q_f32IXadL_ZL17cpy_blck_q8_0_f32PKcPcEELi32EEvS1_S2_lllllllllllllll
; %bb.0:
	s_load_dword s0, s[4:5], 0x94
	v_mov_b32_e32 v2, 0
	v_mov_b32_e32 v1, v2
	;; [unrolled: 1-line block ×3, first 2 shown]
	s_load_dwordx16 s[8:23], s[4:5], 0x0
	s_waitcnt lgkmcnt(0)
	s_and_b32 s0, s0, 0xffff
	v_mad_u64_u32 v[0:1], s[0:1], s0, v3, v[0:1]
	v_lshlrev_b64 v[4:5], 5, v[0:1]
	v_cmp_gt_i64_e32 vcc, s[12:13], v[4:5]
	s_and_saveexec_b64 s[0:1], vcc
	s_cbranch_execz .LBB1_26
; %bb.1:
	s_mul_i32 s0, s16, s15
	s_mul_hi_u32 s1, s16, s14
	s_add_i32 s0, s1, s0
	s_mul_i32 s1, s17, s14
	s_mul_i32 s16, s16, s14
	s_add_i32 s17, s0, s1
	s_mul_i32 s0, s16, s19
	s_mul_hi_u32 s1, s16, s18
	s_add_i32 s0, s1, s0
	s_mul_i32 s1, s17, s18
	s_add_i32 s19, s0, s1
	v_or_b32_e32 v3, s19, v5
	v_cmp_ne_u64_e32 vcc, 0, v[2:3]
	s_mul_i32 s18, s16, s18
	v_ashrrev_i32_e32 v10, 31, v5
                                        ; implicit-def: $vgpr0_vgpr1
	s_and_saveexec_b64 s[0:1], vcc
	s_xor_b64 s[2:3], exec, s[0:1]
	s_cbranch_execz .LBB1_3
; %bb.2:
	s_ashr_i32 s6, s19, 31
	s_add_u32 s0, s18, s6
	s_mov_b32 s7, s6
	s_addc_u32 s1, s19, s6
	s_xor_b64 s[12:13], s[0:1], s[6:7]
	v_cvt_f32_u32_e32 v0, s12
	v_cvt_f32_u32_e32 v1, s13
	s_sub_u32 s7, 0, s12
	s_subb_u32 s24, 0, s13
	v_madmk_f32 v0, v1, 0x4f800000, v0
	v_rcp_f32_e32 v0, v0
	v_mul_f32_e32 v0, 0x5f7ffffc, v0
	v_mul_f32_e32 v1, 0x2f800000, v0
	v_trunc_f32_e32 v1, v1
	v_madmk_f32 v0, v1, 0xcf800000, v0
	v_cvt_u32_f32_e32 v1, v1
	v_cvt_u32_f32_e32 v0, v0
	v_readfirstlane_b32 s25, v1
	v_readfirstlane_b32 s0, v0
	s_mul_i32 s1, s7, s25
	s_mul_hi_u32 s27, s7, s0
	s_mul_i32 s26, s24, s0
	s_add_i32 s1, s27, s1
	s_add_i32 s1, s1, s26
	s_mul_i32 s28, s7, s0
	s_mul_i32 s27, s0, s1
	s_mul_hi_u32 s29, s0, s28
	s_mul_hi_u32 s26, s0, s1
	s_add_u32 s27, s29, s27
	s_addc_u32 s26, 0, s26
	s_mul_hi_u32 s30, s25, s28
	s_mul_i32 s28, s25, s28
	s_add_u32 s27, s27, s28
	s_mul_hi_u32 s29, s25, s1
	s_addc_u32 s26, s26, s30
	s_addc_u32 s27, s29, 0
	s_mul_i32 s1, s25, s1
	s_add_u32 s1, s26, s1
	s_addc_u32 s26, 0, s27
	s_add_u32 s27, s0, s1
	s_cselect_b64 s[0:1], -1, 0
	s_cmp_lg_u64 s[0:1], 0
	s_addc_u32 s25, s25, s26
	s_mul_i32 s0, s7, s25
	s_mul_hi_u32 s1, s7, s27
	s_add_i32 s0, s1, s0
	s_mul_i32 s24, s24, s27
	s_add_i32 s0, s0, s24
	s_mul_i32 s7, s7, s27
	s_mul_hi_u32 s24, s25, s7
	s_mul_i32 s26, s25, s7
	s_mul_i32 s29, s27, s0
	s_mul_hi_u32 s7, s27, s7
	s_mul_hi_u32 s28, s27, s0
	s_add_u32 s7, s7, s29
	s_addc_u32 s28, 0, s28
	s_add_u32 s7, s7, s26
	s_mul_hi_u32 s1, s25, s0
	s_addc_u32 s7, s28, s24
	s_addc_u32 s1, s1, 0
	s_mul_i32 s0, s25, s0
	s_add_u32 s0, s7, s0
	s_addc_u32 s7, 0, s1
	s_add_u32 s24, s27, s0
	s_cselect_b64 s[0:1], -1, 0
	s_cmp_lg_u64 s[0:1], 0
	v_add_co_u32_e32 v0, vcc, v4, v10
	s_addc_u32 s7, s25, s7
	v_xor_b32_e32 v6, v0, v10
	v_mad_u64_u32 v[0:1], s[0:1], v6, s7, 0
	v_mul_hi_u32 v3, v6, s24
	v_addc_co_u32_e32 v2, vcc, v5, v10, vcc
	v_xor_b32_e32 v7, v2, v10
	v_add_co_u32_e32 v8, vcc, v3, v0
	v_addc_co_u32_e32 v9, vcc, 0, v1, vcc
	v_mad_u64_u32 v[0:1], s[0:1], v7, s24, 0
	v_mad_u64_u32 v[2:3], s[0:1], v7, s7, 0
	v_add_co_u32_e32 v0, vcc, v8, v0
	v_addc_co_u32_e32 v0, vcc, v9, v1, vcc
	v_addc_co_u32_e32 v1, vcc, 0, v3, vcc
	v_add_co_u32_e32 v2, vcc, v0, v2
	v_addc_co_u32_e32 v3, vcc, 0, v1, vcc
	v_mul_lo_u32 v8, s13, v2
	v_mul_lo_u32 v9, s12, v3
	v_mad_u64_u32 v[0:1], s[0:1], s12, v2, 0
	v_add3_u32 v1, v1, v9, v8
	v_sub_u32_e32 v8, v7, v1
	v_mov_b32_e32 v9, s13
	v_sub_co_u32_e32 v0, vcc, v6, v0
	v_subb_co_u32_e64 v6, s[0:1], v8, v9, vcc
	v_subrev_co_u32_e64 v8, s[0:1], s12, v0
	v_subbrev_co_u32_e64 v6, s[0:1], 0, v6, s[0:1]
	v_cmp_le_u32_e64 s[0:1], s13, v6
	v_cndmask_b32_e64 v9, 0, -1, s[0:1]
	v_cmp_le_u32_e64 s[0:1], s12, v8
	v_cndmask_b32_e64 v8, 0, -1, s[0:1]
	v_cmp_eq_u32_e64 s[0:1], s13, v6
	v_cndmask_b32_e64 v6, v9, v8, s[0:1]
	v_add_co_u32_e64 v8, s[0:1], 2, v2
	v_subb_co_u32_e32 v1, vcc, v7, v1, vcc
	v_addc_co_u32_e64 v9, s[0:1], 0, v3, s[0:1]
	v_cmp_le_u32_e32 vcc, s13, v1
	v_add_co_u32_e64 v11, s[0:1], 1, v2
	v_cndmask_b32_e64 v7, 0, -1, vcc
	v_cmp_le_u32_e32 vcc, s12, v0
	v_addc_co_u32_e64 v12, s[0:1], 0, v3, s[0:1]
	v_cndmask_b32_e64 v0, 0, -1, vcc
	v_cmp_eq_u32_e32 vcc, s13, v1
	v_cmp_ne_u32_e64 s[0:1], 0, v6
	v_cndmask_b32_e32 v0, v7, v0, vcc
	v_cndmask_b32_e64 v6, v12, v9, s[0:1]
	v_cmp_ne_u32_e32 vcc, 0, v0
	v_cndmask_b32_e64 v1, v11, v8, s[0:1]
	v_cndmask_b32_e32 v0, v3, v6, vcc
	v_cndmask_b32_e32 v1, v2, v1, vcc
	v_xor_b32_e32 v2, s6, v10
	v_xor_b32_e32 v3, v0, v2
	v_xor_b32_e32 v0, v1, v2
	v_sub_co_u32_e32 v0, vcc, v0, v2
	v_subb_co_u32_e32 v1, vcc, v3, v2, vcc
.LBB1_3:
	s_andn2_saveexec_b64 s[0:1], s[2:3]
	s_cbranch_execz .LBB1_5
; %bb.4:
	v_cvt_f32_u32_e32 v0, s18
	s_sub_i32 s2, 0, s18
	v_rcp_iflag_f32_e32 v0, v0
	v_mul_f32_e32 v0, 0x4f7ffffe, v0
	v_cvt_u32_f32_e32 v0, v0
	v_mul_lo_u32 v1, s2, v0
	v_mul_hi_u32 v1, v0, v1
	v_add_u32_e32 v0, v0, v1
	v_mul_hi_u32 v0, v4, v0
	v_mul_lo_u32 v1, v0, s18
	v_add_u32_e32 v2, 1, v0
	v_sub_u32_e32 v1, v4, v1
	v_subrev_u32_e32 v3, s18, v1
	v_cmp_le_u32_e32 vcc, s18, v1
	v_cndmask_b32_e32 v1, v1, v3, vcc
	v_cndmask_b32_e32 v0, v0, v2, vcc
	v_add_u32_e32 v2, 1, v0
	v_cmp_le_u32_e32 vcc, s18, v1
	v_cndmask_b32_e32 v0, v0, v2, vcc
	v_mov_b32_e32 v1, 0
.LBB1_5:
	s_or_b64 exec, exec, s[0:1]
	v_mul_lo_u32 v6, s19, v0
	v_mul_lo_u32 v7, s18, v1
	v_mad_u64_u32 v[2:3], s[0:1], s18, v0, 0
	v_add3_u32 v3, v3, v7, v6
	v_sub_co_u32_e32 v6, vcc, v4, v2
	v_subb_co_u32_e32 v7, vcc, v5, v3, vcc
	v_or_b32_e32 v3, s17, v7
	v_mov_b32_e32 v2, 0
	v_cmp_ne_u64_e32 vcc, 0, v[2:3]
                                        ; implicit-def: $vgpr2_vgpr3
	s_and_saveexec_b64 s[0:1], vcc
	s_xor_b64 s[2:3], exec, s[0:1]
	s_cbranch_execz .LBB1_7
; %bb.6:
	s_ashr_i32 s6, s17, 31
	s_add_u32 s0, s16, s6
	s_mov_b32 s7, s6
	s_addc_u32 s1, s17, s6
	s_xor_b64 s[12:13], s[0:1], s[6:7]
	v_cvt_f32_u32_e32 v2, s12
	v_cvt_f32_u32_e32 v3, s13
	s_sub_u32 s7, 0, s12
	s_subb_u32 s18, 0, s13
	v_ashrrev_i32_e32 v11, 31, v7
	v_madmk_f32 v2, v3, 0x4f800000, v2
	v_rcp_f32_e32 v2, v2
	v_mul_f32_e32 v2, 0x5f7ffffc, v2
	v_mul_f32_e32 v3, 0x2f800000, v2
	v_trunc_f32_e32 v3, v3
	v_madmk_f32 v2, v3, 0xcf800000, v2
	v_cvt_u32_f32_e32 v3, v3
	v_cvt_u32_f32_e32 v2, v2
	v_readfirstlane_b32 s19, v3
	v_readfirstlane_b32 s0, v2
	s_mul_i32 s1, s7, s19
	s_mul_hi_u32 s25, s7, s0
	s_mul_i32 s24, s18, s0
	s_add_i32 s1, s25, s1
	s_add_i32 s1, s1, s24
	s_mul_i32 s26, s7, s0
	s_mul_i32 s25, s0, s1
	s_mul_hi_u32 s27, s0, s26
	s_mul_hi_u32 s24, s0, s1
	s_add_u32 s25, s27, s25
	s_addc_u32 s24, 0, s24
	s_mul_hi_u32 s28, s19, s26
	s_mul_i32 s26, s19, s26
	s_add_u32 s25, s25, s26
	s_mul_hi_u32 s27, s19, s1
	s_addc_u32 s24, s24, s28
	s_addc_u32 s25, s27, 0
	s_mul_i32 s1, s19, s1
	s_add_u32 s1, s24, s1
	s_addc_u32 s24, 0, s25
	s_add_u32 s25, s0, s1
	s_cselect_b64 s[0:1], -1, 0
	s_cmp_lg_u64 s[0:1], 0
	s_addc_u32 s19, s19, s24
	s_mul_i32 s0, s7, s19
	s_mul_hi_u32 s1, s7, s25
	s_add_i32 s0, s1, s0
	s_mul_i32 s18, s18, s25
	s_add_i32 s0, s0, s18
	s_mul_i32 s7, s7, s25
	s_mul_hi_u32 s18, s19, s7
	s_mul_i32 s24, s19, s7
	s_mul_i32 s27, s25, s0
	s_mul_hi_u32 s7, s25, s7
	s_mul_hi_u32 s26, s25, s0
	s_add_u32 s7, s7, s27
	s_addc_u32 s26, 0, s26
	s_add_u32 s7, s7, s24
	s_mul_hi_u32 s1, s19, s0
	s_addc_u32 s7, s26, s18
	s_addc_u32 s1, s1, 0
	s_mul_i32 s0, s19, s0
	s_add_u32 s0, s7, s0
	s_addc_u32 s7, 0, s1
	s_add_u32 s18, s25, s0
	s_cselect_b64 s[0:1], -1, 0
	s_cmp_lg_u64 s[0:1], 0
	v_add_co_u32_e32 v2, vcc, v6, v11
	s_addc_u32 s7, s19, s7
	v_xor_b32_e32 v12, v2, v11
	v_mad_u64_u32 v[2:3], s[0:1], v12, s7, 0
	v_mul_hi_u32 v9, v12, s18
	v_addc_co_u32_e32 v8, vcc, v7, v11, vcc
	v_xor_b32_e32 v13, v8, v11
	v_add_co_u32_e32 v14, vcc, v9, v2
	v_addc_co_u32_e32 v15, vcc, 0, v3, vcc
	v_mad_u64_u32 v[2:3], s[0:1], v13, s18, 0
	v_mad_u64_u32 v[8:9], s[0:1], v13, s7, 0
	v_add_co_u32_e32 v2, vcc, v14, v2
	v_addc_co_u32_e32 v2, vcc, v15, v3, vcc
	v_addc_co_u32_e32 v3, vcc, 0, v9, vcc
	v_add_co_u32_e32 v8, vcc, v2, v8
	v_addc_co_u32_e32 v9, vcc, 0, v3, vcc
	v_mul_lo_u32 v14, s13, v8
	v_mul_lo_u32 v15, s12, v9
	v_mad_u64_u32 v[2:3], s[0:1], s12, v8, 0
	v_add3_u32 v3, v3, v15, v14
	v_sub_u32_e32 v14, v13, v3
	v_mov_b32_e32 v15, s13
	v_sub_co_u32_e32 v2, vcc, v12, v2
	v_subb_co_u32_e64 v12, s[0:1], v14, v15, vcc
	v_subrev_co_u32_e64 v14, s[0:1], s12, v2
	v_subbrev_co_u32_e64 v12, s[0:1], 0, v12, s[0:1]
	v_cmp_le_u32_e64 s[0:1], s13, v12
	v_cndmask_b32_e64 v15, 0, -1, s[0:1]
	v_cmp_le_u32_e64 s[0:1], s12, v14
	v_cndmask_b32_e64 v14, 0, -1, s[0:1]
	v_cmp_eq_u32_e64 s[0:1], s13, v12
	v_cndmask_b32_e64 v12, v15, v14, s[0:1]
	v_add_co_u32_e64 v14, s[0:1], 2, v8
	v_subb_co_u32_e32 v3, vcc, v13, v3, vcc
	v_addc_co_u32_e64 v15, s[0:1], 0, v9, s[0:1]
	v_cmp_le_u32_e32 vcc, s13, v3
	v_add_co_u32_e64 v16, s[0:1], 1, v8
	v_cndmask_b32_e64 v13, 0, -1, vcc
	v_cmp_le_u32_e32 vcc, s12, v2
	v_addc_co_u32_e64 v17, s[0:1], 0, v9, s[0:1]
	v_cndmask_b32_e64 v2, 0, -1, vcc
	v_cmp_eq_u32_e32 vcc, s13, v3
	v_cmp_ne_u32_e64 s[0:1], 0, v12
	v_cndmask_b32_e32 v2, v13, v2, vcc
	v_cndmask_b32_e64 v12, v17, v15, s[0:1]
	v_cmp_ne_u32_e32 vcc, 0, v2
	v_cndmask_b32_e64 v3, v16, v14, s[0:1]
	v_cndmask_b32_e32 v2, v9, v12, vcc
	v_cndmask_b32_e32 v3, v8, v3, vcc
	v_xor_b32_e32 v8, s6, v11
	v_xor_b32_e32 v9, v2, v8
	;; [unrolled: 1-line block ×3, first 2 shown]
	v_sub_co_u32_e32 v2, vcc, v2, v8
	v_subb_co_u32_e32 v3, vcc, v9, v8, vcc
.LBB1_7:
	s_andn2_saveexec_b64 s[0:1], s[2:3]
	s_cbranch_execz .LBB1_9
; %bb.8:
	v_cvt_f32_u32_e32 v2, s16
	s_sub_i32 s2, 0, s16
	v_rcp_iflag_f32_e32 v2, v2
	v_mul_f32_e32 v2, 0x4f7ffffe, v2
	v_cvt_u32_f32_e32 v2, v2
	v_mul_lo_u32 v3, s2, v2
	v_mul_hi_u32 v3, v2, v3
	v_add_u32_e32 v2, v2, v3
	v_mul_hi_u32 v2, v6, v2
	v_mul_lo_u32 v3, v2, s16
	v_add_u32_e32 v8, 1, v2
	v_sub_u32_e32 v3, v6, v3
	v_subrev_u32_e32 v9, s16, v3
	v_cmp_le_u32_e32 vcc, s16, v3
	v_cndmask_b32_e32 v3, v3, v9, vcc
	v_cndmask_b32_e32 v2, v2, v8, vcc
	v_add_u32_e32 v8, 1, v2
	v_cmp_le_u32_e32 vcc, s16, v3
	v_cndmask_b32_e32 v2, v2, v8, vcc
	v_mov_b32_e32 v3, 0
.LBB1_9:
	s_or_b64 exec, exec, s[0:1]
	v_mul_lo_u32 v11, s17, v2
	v_mul_lo_u32 v12, s16, v3
	v_mad_u64_u32 v[8:9], s[0:1], s16, v2, 0
	v_add3_u32 v9, v9, v12, v11
	v_sub_co_u32_e32 v12, vcc, v6, v8
	v_subb_co_u32_e32 v13, vcc, v7, v9, vcc
	v_or_b32_e32 v7, s15, v13
	v_mov_b32_e32 v6, 0
	v_cmp_ne_u64_e32 vcc, 0, v[6:7]
                                        ; implicit-def: $vgpr6_vgpr7
	s_and_saveexec_b64 s[0:1], vcc
	s_xor_b64 s[2:3], exec, s[0:1]
	s_cbranch_execz .LBB1_11
; %bb.10:
	s_ashr_i32 s6, s15, 31
	s_add_u32 s0, s14, s6
	s_mov_b32 s7, s6
	s_addc_u32 s1, s15, s6
	s_xor_b64 s[12:13], s[0:1], s[6:7]
	v_cvt_f32_u32_e32 v6, s12
	v_cvt_f32_u32_e32 v7, s13
	s_sub_u32 s7, 0, s12
	s_subb_u32 s16, 0, s13
	v_ashrrev_i32_e32 v11, 31, v13
	v_madmk_f32 v6, v7, 0x4f800000, v6
	v_rcp_f32_e32 v6, v6
	v_mul_f32_e32 v6, 0x5f7ffffc, v6
	v_mul_f32_e32 v7, 0x2f800000, v6
	v_trunc_f32_e32 v7, v7
	v_madmk_f32 v6, v7, 0xcf800000, v6
	v_cvt_u32_f32_e32 v7, v7
	v_cvt_u32_f32_e32 v6, v6
	v_readfirstlane_b32 s17, v7
	v_readfirstlane_b32 s0, v6
	s_mul_i32 s1, s7, s17
	s_mul_hi_u32 s19, s7, s0
	s_mul_i32 s18, s16, s0
	s_add_i32 s1, s19, s1
	s_add_i32 s1, s1, s18
	s_mul_i32 s24, s7, s0
	s_mul_i32 s19, s0, s1
	s_mul_hi_u32 s25, s0, s24
	s_mul_hi_u32 s18, s0, s1
	s_add_u32 s19, s25, s19
	s_addc_u32 s18, 0, s18
	s_mul_hi_u32 s26, s17, s24
	s_mul_i32 s24, s17, s24
	s_add_u32 s19, s19, s24
	s_mul_hi_u32 s25, s17, s1
	s_addc_u32 s18, s18, s26
	s_addc_u32 s19, s25, 0
	s_mul_i32 s1, s17, s1
	s_add_u32 s1, s18, s1
	s_addc_u32 s18, 0, s19
	s_add_u32 s19, s0, s1
	s_cselect_b64 s[0:1], -1, 0
	s_cmp_lg_u64 s[0:1], 0
	s_addc_u32 s17, s17, s18
	s_mul_i32 s0, s7, s17
	s_mul_hi_u32 s1, s7, s19
	s_add_i32 s0, s1, s0
	s_mul_i32 s16, s16, s19
	s_add_i32 s0, s0, s16
	s_mul_i32 s7, s7, s19
	s_mul_hi_u32 s16, s17, s7
	s_mul_i32 s18, s17, s7
	s_mul_i32 s25, s19, s0
	s_mul_hi_u32 s7, s19, s7
	s_mul_hi_u32 s24, s19, s0
	s_add_u32 s7, s7, s25
	s_addc_u32 s24, 0, s24
	s_add_u32 s7, s7, s18
	s_mul_hi_u32 s1, s17, s0
	s_addc_u32 s7, s24, s16
	s_addc_u32 s1, s1, 0
	s_mul_i32 s0, s17, s0
	s_add_u32 s0, s7, s0
	s_addc_u32 s7, 0, s1
	s_add_u32 s16, s19, s0
	s_cselect_b64 s[0:1], -1, 0
	s_cmp_lg_u64 s[0:1], 0
	v_add_co_u32_e32 v6, vcc, v12, v11
	s_addc_u32 s7, s17, s7
	v_xor_b32_e32 v14, v6, v11
	v_mad_u64_u32 v[6:7], s[0:1], v14, s7, 0
	v_mul_hi_u32 v9, v14, s16
	v_addc_co_u32_e32 v8, vcc, v13, v11, vcc
	v_xor_b32_e32 v15, v8, v11
	v_add_co_u32_e32 v16, vcc, v9, v6
	v_addc_co_u32_e32 v17, vcc, 0, v7, vcc
	v_mad_u64_u32 v[6:7], s[0:1], v15, s16, 0
	v_mad_u64_u32 v[8:9], s[0:1], v15, s7, 0
	v_add_co_u32_e32 v6, vcc, v16, v6
	v_addc_co_u32_e32 v6, vcc, v17, v7, vcc
	v_addc_co_u32_e32 v7, vcc, 0, v9, vcc
	v_add_co_u32_e32 v8, vcc, v6, v8
	v_addc_co_u32_e32 v9, vcc, 0, v7, vcc
	v_mul_lo_u32 v16, s13, v8
	v_mul_lo_u32 v17, s12, v9
	v_mad_u64_u32 v[6:7], s[0:1], s12, v8, 0
	v_add3_u32 v7, v7, v17, v16
	v_sub_u32_e32 v16, v15, v7
	v_mov_b32_e32 v17, s13
	v_sub_co_u32_e32 v6, vcc, v14, v6
	v_subb_co_u32_e64 v14, s[0:1], v16, v17, vcc
	v_subrev_co_u32_e64 v16, s[0:1], s12, v6
	v_subbrev_co_u32_e64 v14, s[0:1], 0, v14, s[0:1]
	v_cmp_le_u32_e64 s[0:1], s13, v14
	v_cndmask_b32_e64 v17, 0, -1, s[0:1]
	v_cmp_le_u32_e64 s[0:1], s12, v16
	v_cndmask_b32_e64 v16, 0, -1, s[0:1]
	v_cmp_eq_u32_e64 s[0:1], s13, v14
	v_cndmask_b32_e64 v14, v17, v16, s[0:1]
	v_add_co_u32_e64 v16, s[0:1], 2, v8
	v_subb_co_u32_e32 v7, vcc, v15, v7, vcc
	v_addc_co_u32_e64 v17, s[0:1], 0, v9, s[0:1]
	v_cmp_le_u32_e32 vcc, s13, v7
	v_add_co_u32_e64 v18, s[0:1], 1, v8
	v_cndmask_b32_e64 v15, 0, -1, vcc
	v_cmp_le_u32_e32 vcc, s12, v6
	v_addc_co_u32_e64 v19, s[0:1], 0, v9, s[0:1]
	v_cndmask_b32_e64 v6, 0, -1, vcc
	v_cmp_eq_u32_e32 vcc, s13, v7
	v_cmp_ne_u32_e64 s[0:1], 0, v14
	v_cndmask_b32_e32 v6, v15, v6, vcc
	v_cndmask_b32_e64 v14, v19, v17, s[0:1]
	v_cmp_ne_u32_e32 vcc, 0, v6
	v_cndmask_b32_e64 v7, v18, v16, s[0:1]
	v_cndmask_b32_e32 v6, v9, v14, vcc
	v_cndmask_b32_e32 v7, v8, v7, vcc
	v_xor_b32_e32 v8, s6, v11
	v_xor_b32_e32 v9, v6, v8
	;; [unrolled: 1-line block ×3, first 2 shown]
	v_sub_co_u32_e32 v6, vcc, v6, v8
	v_subb_co_u32_e32 v7, vcc, v9, v8, vcc
.LBB1_11:
	s_andn2_saveexec_b64 s[0:1], s[2:3]
	s_cbranch_execz .LBB1_13
; %bb.12:
	v_cvt_f32_u32_e32 v6, s14
	s_sub_i32 s2, 0, s14
	v_rcp_iflag_f32_e32 v6, v6
	v_mul_f32_e32 v6, 0x4f7ffffe, v6
	v_cvt_u32_f32_e32 v6, v6
	v_mul_lo_u32 v7, s2, v6
	v_mul_hi_u32 v7, v6, v7
	v_add_u32_e32 v6, v6, v7
	v_mul_hi_u32 v6, v12, v6
	v_mul_lo_u32 v7, v6, s14
	v_add_u32_e32 v8, 1, v6
	v_sub_u32_e32 v7, v12, v7
	v_subrev_u32_e32 v9, s14, v7
	v_cmp_le_u32_e32 vcc, s14, v7
	v_cndmask_b32_e32 v7, v7, v9, vcc
	v_cndmask_b32_e32 v6, v6, v8, vcc
	v_add_u32_e32 v8, 1, v6
	v_cmp_le_u32_e32 vcc, s14, v7
	v_cndmask_b32_e32 v6, v6, v8, vcc
	v_mov_b32_e32 v7, 0
.LBB1_13:
	s_or_b64 exec, exec, s[0:1]
	s_load_dwordx16 s[36:51], s[4:5], 0x40
	v_mov_b32_e32 v8, 0
	s_waitcnt lgkmcnt(0)
	s_mul_i32 s0, s42, s41
	s_mul_hi_u32 s1, s42, s40
	s_mul_i32 s2, s43, s40
	s_mul_i32 s16, s42, s40
	s_add_i32 s17, s1, s0
	s_mul_i32 s0, s16, s45
	s_add_i32 s17, s17, s2
	s_mul_hi_u32 s1, s16, s44
	s_add_i32 s0, s1, s0
	s_mul_i32 s1, s17, s44
	s_add_i32 s18, s0, s1
	v_or_b32_e32 v9, s18, v5
	v_cmp_ne_u64_e32 vcc, 0, v[8:9]
	s_mul_i32 s19, s16, s44
                                        ; implicit-def: $vgpr8_vgpr9
	s_and_saveexec_b64 s[0:1], vcc
	s_xor_b64 s[2:3], exec, s[0:1]
	s_cbranch_execz .LBB1_15
; %bb.14:
	s_ashr_i32 s6, s18, 31
	s_add_u32 s0, s19, s6
	s_mov_b32 s7, s6
	s_addc_u32 s1, s18, s6
	s_xor_b64 s[12:13], s[0:1], s[6:7]
	v_cvt_f32_u32_e32 v8, s12
	v_cvt_f32_u32_e32 v9, s13
	s_sub_u32 s7, 0, s12
	s_subb_u32 s24, 0, s13
	v_madmk_f32 v8, v9, 0x4f800000, v8
	v_rcp_f32_e32 v8, v8
	v_mul_f32_e32 v8, 0x5f7ffffc, v8
	v_mul_f32_e32 v9, 0x2f800000, v8
	v_trunc_f32_e32 v9, v9
	v_madmk_f32 v8, v9, 0xcf800000, v8
	v_cvt_u32_f32_e32 v9, v9
	v_cvt_u32_f32_e32 v8, v8
	v_readfirstlane_b32 s25, v9
	v_readfirstlane_b32 s0, v8
	s_mul_i32 s1, s7, s25
	s_mul_hi_u32 s27, s7, s0
	s_mul_i32 s26, s24, s0
	s_add_i32 s1, s27, s1
	s_add_i32 s1, s1, s26
	s_mul_i32 s28, s7, s0
	s_mul_i32 s27, s0, s1
	s_mul_hi_u32 s29, s0, s28
	s_mul_hi_u32 s26, s0, s1
	s_add_u32 s27, s29, s27
	s_addc_u32 s26, 0, s26
	s_mul_hi_u32 s30, s25, s28
	s_mul_i32 s28, s25, s28
	s_add_u32 s27, s27, s28
	s_mul_hi_u32 s29, s25, s1
	s_addc_u32 s26, s26, s30
	s_addc_u32 s27, s29, 0
	s_mul_i32 s1, s25, s1
	s_add_u32 s1, s26, s1
	s_addc_u32 s26, 0, s27
	s_add_u32 s27, s0, s1
	s_cselect_b64 s[0:1], -1, 0
	s_cmp_lg_u64 s[0:1], 0
	s_addc_u32 s25, s25, s26
	s_mul_i32 s0, s7, s25
	s_mul_hi_u32 s1, s7, s27
	s_add_i32 s0, s1, s0
	s_mul_i32 s24, s24, s27
	s_add_i32 s0, s0, s24
	s_mul_i32 s7, s7, s27
	s_mul_hi_u32 s24, s25, s7
	s_mul_i32 s26, s25, s7
	s_mul_i32 s29, s27, s0
	s_mul_hi_u32 s7, s27, s7
	s_mul_hi_u32 s28, s27, s0
	s_add_u32 s7, s7, s29
	s_addc_u32 s28, 0, s28
	s_add_u32 s7, s7, s26
	s_mul_hi_u32 s1, s25, s0
	s_addc_u32 s7, s28, s24
	s_addc_u32 s1, s1, 0
	s_mul_i32 s0, s25, s0
	s_add_u32 s0, s7, s0
	s_addc_u32 s7, 0, s1
	s_add_u32 s24, s27, s0
	s_cselect_b64 s[0:1], -1, 0
	s_cmp_lg_u64 s[0:1], 0
	v_add_co_u32_e32 v8, vcc, v4, v10
	s_addc_u32 s7, s25, s7
	v_xor_b32_e32 v16, v8, v10
	v_mad_u64_u32 v[8:9], s[0:1], v16, s7, 0
	v_mul_hi_u32 v14, v16, s24
	v_addc_co_u32_e32 v11, vcc, v5, v10, vcc
	v_xor_b32_e32 v11, v11, v10
	v_add_co_u32_e32 v17, vcc, v14, v8
	v_addc_co_u32_e32 v18, vcc, 0, v9, vcc
	v_mad_u64_u32 v[8:9], s[0:1], v11, s24, 0
	v_mad_u64_u32 v[14:15], s[0:1], v11, s7, 0
	v_add_co_u32_e32 v8, vcc, v17, v8
	v_addc_co_u32_e32 v8, vcc, v18, v9, vcc
	v_addc_co_u32_e32 v9, vcc, 0, v15, vcc
	v_add_co_u32_e32 v14, vcc, v8, v14
	v_addc_co_u32_e32 v15, vcc, 0, v9, vcc
	v_mul_lo_u32 v17, s13, v14
	v_mul_lo_u32 v18, s12, v15
	v_mad_u64_u32 v[8:9], s[0:1], s12, v14, 0
	v_xor_b32_e32 v10, s6, v10
	v_add3_u32 v9, v9, v18, v17
	v_sub_u32_e32 v17, v11, v9
	v_mov_b32_e32 v18, s13
	v_sub_co_u32_e32 v8, vcc, v16, v8
	v_subb_co_u32_e64 v16, s[0:1], v17, v18, vcc
	v_subrev_co_u32_e64 v17, s[0:1], s12, v8
	v_subbrev_co_u32_e64 v16, s[0:1], 0, v16, s[0:1]
	v_cmp_le_u32_e64 s[0:1], s13, v16
	v_cndmask_b32_e64 v18, 0, -1, s[0:1]
	v_cmp_le_u32_e64 s[0:1], s12, v17
	v_cndmask_b32_e64 v17, 0, -1, s[0:1]
	v_cmp_eq_u32_e64 s[0:1], s13, v16
	v_cndmask_b32_e64 v16, v18, v17, s[0:1]
	v_add_co_u32_e64 v17, s[0:1], 2, v14
	v_subb_co_u32_e32 v9, vcc, v11, v9, vcc
	v_addc_co_u32_e64 v18, s[0:1], 0, v15, s[0:1]
	v_cmp_le_u32_e32 vcc, s13, v9
	v_add_co_u32_e64 v19, s[0:1], 1, v14
	v_cndmask_b32_e64 v11, 0, -1, vcc
	v_cmp_le_u32_e32 vcc, s12, v8
	v_addc_co_u32_e64 v20, s[0:1], 0, v15, s[0:1]
	v_cndmask_b32_e64 v8, 0, -1, vcc
	v_cmp_eq_u32_e32 vcc, s13, v9
	v_cmp_ne_u32_e64 s[0:1], 0, v16
	v_cndmask_b32_e32 v8, v11, v8, vcc
	v_cndmask_b32_e64 v16, v20, v18, s[0:1]
	v_cmp_ne_u32_e32 vcc, 0, v8
	v_cndmask_b32_e64 v9, v19, v17, s[0:1]
	v_cndmask_b32_e32 v8, v15, v16, vcc
	v_cndmask_b32_e32 v9, v14, v9, vcc
	v_xor_b32_e32 v11, v8, v10
	v_xor_b32_e32 v8, v9, v10
	v_sub_co_u32_e32 v8, vcc, v8, v10
	v_subb_co_u32_e32 v9, vcc, v11, v10, vcc
.LBB1_15:
	s_andn2_saveexec_b64 s[0:1], s[2:3]
	s_cbranch_execz .LBB1_17
; %bb.16:
	v_cvt_f32_u32_e32 v8, s19
	s_sub_i32 s2, 0, s19
	v_rcp_iflag_f32_e32 v8, v8
	v_mul_f32_e32 v8, 0x4f7ffffe, v8
	v_cvt_u32_f32_e32 v8, v8
	v_mul_lo_u32 v9, s2, v8
	v_mul_hi_u32 v9, v8, v9
	v_add_u32_e32 v8, v8, v9
	v_mul_hi_u32 v8, v4, v8
	v_mul_lo_u32 v9, v8, s19
	v_add_u32_e32 v10, 1, v8
	v_sub_u32_e32 v9, v4, v9
	v_subrev_u32_e32 v11, s19, v9
	v_cmp_le_u32_e32 vcc, s19, v9
	v_cndmask_b32_e32 v9, v9, v11, vcc
	v_cndmask_b32_e32 v8, v8, v10, vcc
	v_add_u32_e32 v10, 1, v8
	v_cmp_le_u32_e32 vcc, s19, v9
	v_cndmask_b32_e32 v8, v8, v10, vcc
	v_mov_b32_e32 v9, 0
.LBB1_17:
	s_or_b64 exec, exec, s[0:1]
	v_mul_lo_u32 v14, s18, v8
	v_mul_lo_u32 v15, s19, v9
	v_mad_u64_u32 v[10:11], s[0:1], s19, v8, 0
	v_add3_u32 v11, v11, v15, v14
	v_sub_co_u32_e32 v10, vcc, v4, v10
	v_subb_co_u32_e32 v11, vcc, v5, v11, vcc
	v_or_b32_e32 v5, s17, v11
	v_mov_b32_e32 v4, 0
	v_cmp_ne_u64_e32 vcc, 0, v[4:5]
                                        ; implicit-def: $vgpr4_vgpr5
	s_and_saveexec_b64 s[0:1], vcc
	s_xor_b64 s[2:3], exec, s[0:1]
	s_cbranch_execz .LBB1_19
; %bb.18:
	s_ashr_i32 s6, s17, 31
	s_add_u32 s0, s16, s6
	s_mov_b32 s7, s6
	s_addc_u32 s1, s17, s6
	s_xor_b64 s[12:13], s[0:1], s[6:7]
	v_cvt_f32_u32_e32 v4, s12
	v_cvt_f32_u32_e32 v5, s13
	s_sub_u32 s7, 0, s12
	s_subb_u32 s18, 0, s13
	v_ashrrev_i32_e32 v16, 31, v11
	v_madmk_f32 v4, v5, 0x4f800000, v4
	v_rcp_f32_e32 v4, v4
	v_mul_f32_e32 v4, 0x5f7ffffc, v4
	v_mul_f32_e32 v5, 0x2f800000, v4
	v_trunc_f32_e32 v5, v5
	v_madmk_f32 v4, v5, 0xcf800000, v4
	v_cvt_u32_f32_e32 v5, v5
	v_cvt_u32_f32_e32 v4, v4
	v_readfirstlane_b32 s19, v5
	v_readfirstlane_b32 s0, v4
	s_mul_i32 s1, s7, s19
	s_mul_hi_u32 s25, s7, s0
	s_mul_i32 s24, s18, s0
	s_add_i32 s1, s25, s1
	s_add_i32 s1, s1, s24
	s_mul_i32 s26, s7, s0
	s_mul_i32 s25, s0, s1
	s_mul_hi_u32 s27, s0, s26
	s_mul_hi_u32 s24, s0, s1
	s_add_u32 s25, s27, s25
	s_addc_u32 s24, 0, s24
	s_mul_hi_u32 s28, s19, s26
	s_mul_i32 s26, s19, s26
	s_add_u32 s25, s25, s26
	s_mul_hi_u32 s27, s19, s1
	s_addc_u32 s24, s24, s28
	s_addc_u32 s25, s27, 0
	s_mul_i32 s1, s19, s1
	s_add_u32 s1, s24, s1
	s_addc_u32 s24, 0, s25
	s_add_u32 s25, s0, s1
	s_cselect_b64 s[0:1], -1, 0
	s_cmp_lg_u64 s[0:1], 0
	s_addc_u32 s19, s19, s24
	s_mul_i32 s0, s7, s19
	s_mul_hi_u32 s1, s7, s25
	s_add_i32 s0, s1, s0
	s_mul_i32 s18, s18, s25
	s_add_i32 s0, s0, s18
	s_mul_i32 s7, s7, s25
	s_mul_hi_u32 s18, s19, s7
	s_mul_i32 s24, s19, s7
	s_mul_i32 s27, s25, s0
	s_mul_hi_u32 s7, s25, s7
	s_mul_hi_u32 s26, s25, s0
	s_add_u32 s7, s7, s27
	s_addc_u32 s26, 0, s26
	s_add_u32 s7, s7, s24
	s_mul_hi_u32 s1, s19, s0
	s_addc_u32 s7, s26, s18
	s_addc_u32 s1, s1, 0
	s_mul_i32 s0, s19, s0
	s_add_u32 s0, s7, s0
	s_addc_u32 s7, 0, s1
	s_add_u32 s18, s25, s0
	s_cselect_b64 s[0:1], -1, 0
	s_cmp_lg_u64 s[0:1], 0
	v_add_co_u32_e32 v4, vcc, v10, v16
	s_addc_u32 s7, s19, s7
	v_xor_b32_e32 v17, v4, v16
	v_mad_u64_u32 v[4:5], s[0:1], v17, s7, 0
	v_mul_hi_u32 v15, v17, s18
	v_addc_co_u32_e32 v14, vcc, v11, v16, vcc
	v_xor_b32_e32 v18, v14, v16
	v_add_co_u32_e32 v19, vcc, v15, v4
	v_addc_co_u32_e32 v20, vcc, 0, v5, vcc
	v_mad_u64_u32 v[4:5], s[0:1], v18, s18, 0
	v_mad_u64_u32 v[14:15], s[0:1], v18, s7, 0
	v_add_co_u32_e32 v4, vcc, v19, v4
	v_addc_co_u32_e32 v4, vcc, v20, v5, vcc
	v_addc_co_u32_e32 v5, vcc, 0, v15, vcc
	v_add_co_u32_e32 v14, vcc, v4, v14
	v_addc_co_u32_e32 v15, vcc, 0, v5, vcc
	v_mul_lo_u32 v19, s13, v14
	v_mul_lo_u32 v20, s12, v15
	v_mad_u64_u32 v[4:5], s[0:1], s12, v14, 0
	v_add3_u32 v5, v5, v20, v19
	v_sub_u32_e32 v19, v18, v5
	v_mov_b32_e32 v20, s13
	v_sub_co_u32_e32 v4, vcc, v17, v4
	v_subb_co_u32_e64 v17, s[0:1], v19, v20, vcc
	v_subrev_co_u32_e64 v19, s[0:1], s12, v4
	v_subbrev_co_u32_e64 v17, s[0:1], 0, v17, s[0:1]
	v_cmp_le_u32_e64 s[0:1], s13, v17
	v_cndmask_b32_e64 v20, 0, -1, s[0:1]
	v_cmp_le_u32_e64 s[0:1], s12, v19
	v_cndmask_b32_e64 v19, 0, -1, s[0:1]
	v_cmp_eq_u32_e64 s[0:1], s13, v17
	v_cndmask_b32_e64 v17, v20, v19, s[0:1]
	v_add_co_u32_e64 v19, s[0:1], 2, v14
	v_subb_co_u32_e32 v5, vcc, v18, v5, vcc
	v_addc_co_u32_e64 v20, s[0:1], 0, v15, s[0:1]
	v_cmp_le_u32_e32 vcc, s13, v5
	v_add_co_u32_e64 v21, s[0:1], 1, v14
	v_cndmask_b32_e64 v18, 0, -1, vcc
	v_cmp_le_u32_e32 vcc, s12, v4
	v_addc_co_u32_e64 v22, s[0:1], 0, v15, s[0:1]
	v_cndmask_b32_e64 v4, 0, -1, vcc
	v_cmp_eq_u32_e32 vcc, s13, v5
	v_cmp_ne_u32_e64 s[0:1], 0, v17
	v_cndmask_b32_e32 v4, v18, v4, vcc
	v_cndmask_b32_e64 v17, v22, v20, s[0:1]
	v_cmp_ne_u32_e32 vcc, 0, v4
	v_cndmask_b32_e64 v5, v21, v19, s[0:1]
	v_cndmask_b32_e32 v4, v15, v17, vcc
	v_cndmask_b32_e32 v5, v14, v5, vcc
	v_xor_b32_e32 v14, s6, v16
	v_xor_b32_e32 v15, v4, v14
	v_xor_b32_e32 v4, v5, v14
	v_sub_co_u32_e32 v4, vcc, v4, v14
	v_subb_co_u32_e32 v5, vcc, v15, v14, vcc
.LBB1_19:
	s_andn2_saveexec_b64 s[0:1], s[2:3]
	s_cbranch_execz .LBB1_21
; %bb.20:
	v_cvt_f32_u32_e32 v4, s16
	s_sub_i32 s2, 0, s16
	v_rcp_iflag_f32_e32 v4, v4
	v_mul_f32_e32 v4, 0x4f7ffffe, v4
	v_cvt_u32_f32_e32 v4, v4
	v_mul_lo_u32 v5, s2, v4
	v_mul_hi_u32 v5, v4, v5
	v_add_u32_e32 v4, v4, v5
	v_mul_hi_u32 v4, v10, v4
	v_mul_lo_u32 v5, v4, s16
	v_add_u32_e32 v14, 1, v4
	v_sub_u32_e32 v5, v10, v5
	v_subrev_u32_e32 v15, s16, v5
	v_cmp_le_u32_e32 vcc, s16, v5
	v_cndmask_b32_e32 v5, v5, v15, vcc
	v_cndmask_b32_e32 v4, v4, v14, vcc
	v_add_u32_e32 v14, 1, v4
	v_cmp_le_u32_e32 vcc, s16, v5
	v_cndmask_b32_e32 v4, v4, v14, vcc
	v_mov_b32_e32 v5, 0
.LBB1_21:
	s_or_b64 exec, exec, s[0:1]
	v_mul_lo_u32 v16, s17, v4
	v_mul_lo_u32 v17, s16, v5
	v_mad_u64_u32 v[14:15], s[0:1], s16, v4, 0
	v_add3_u32 v15, v15, v17, v16
	v_sub_co_u32_e32 v14, vcc, v10, v14
	v_subb_co_u32_e32 v15, vcc, v11, v15, vcc
	v_or_b32_e32 v11, s41, v15
	v_mov_b32_e32 v10, 0
	v_cmp_ne_u64_e32 vcc, 0, v[10:11]
                                        ; implicit-def: $vgpr10_vgpr11
	s_and_saveexec_b64 s[0:1], vcc
	s_xor_b64 s[2:3], exec, s[0:1]
	s_cbranch_execz .LBB1_23
; %bb.22:
	s_ashr_i32 s6, s41, 31
	s_add_u32 s0, s40, s6
	s_mov_b32 s7, s6
	s_addc_u32 s1, s41, s6
	s_xor_b64 s[12:13], s[0:1], s[6:7]
	v_cvt_f32_u32_e32 v10, s12
	v_cvt_f32_u32_e32 v11, s13
	s_sub_u32 s7, 0, s12
	s_subb_u32 s16, 0, s13
	v_ashrrev_i32_e32 v18, 31, v15
	v_madmk_f32 v10, v11, 0x4f800000, v10
	v_rcp_f32_e32 v10, v10
	v_mul_f32_e32 v10, 0x5f7ffffc, v10
	v_mul_f32_e32 v11, 0x2f800000, v10
	v_trunc_f32_e32 v11, v11
	v_madmk_f32 v10, v11, 0xcf800000, v10
	v_cvt_u32_f32_e32 v11, v11
	v_cvt_u32_f32_e32 v10, v10
	v_readfirstlane_b32 s17, v11
	v_readfirstlane_b32 s0, v10
	s_mul_i32 s1, s7, s17
	s_mul_hi_u32 s19, s7, s0
	s_mul_i32 s18, s16, s0
	s_add_i32 s1, s19, s1
	s_add_i32 s1, s1, s18
	s_mul_i32 s24, s7, s0
	s_mul_i32 s19, s0, s1
	s_mul_hi_u32 s25, s0, s24
	s_mul_hi_u32 s18, s0, s1
	s_add_u32 s19, s25, s19
	s_addc_u32 s18, 0, s18
	s_mul_hi_u32 s26, s17, s24
	s_mul_i32 s24, s17, s24
	s_add_u32 s19, s19, s24
	s_mul_hi_u32 s25, s17, s1
	s_addc_u32 s18, s18, s26
	s_addc_u32 s19, s25, 0
	s_mul_i32 s1, s17, s1
	s_add_u32 s1, s18, s1
	s_addc_u32 s18, 0, s19
	s_add_u32 s19, s0, s1
	s_cselect_b64 s[0:1], -1, 0
	s_cmp_lg_u64 s[0:1], 0
	s_addc_u32 s17, s17, s18
	s_mul_i32 s0, s7, s17
	s_mul_hi_u32 s1, s7, s19
	s_add_i32 s0, s1, s0
	s_mul_i32 s16, s16, s19
	s_add_i32 s0, s0, s16
	s_mul_i32 s7, s7, s19
	s_mul_hi_u32 s16, s17, s7
	s_mul_i32 s18, s17, s7
	s_mul_i32 s25, s19, s0
	s_mul_hi_u32 s7, s19, s7
	s_mul_hi_u32 s24, s19, s0
	s_add_u32 s7, s7, s25
	s_addc_u32 s24, 0, s24
	s_add_u32 s7, s7, s18
	s_mul_hi_u32 s1, s17, s0
	s_addc_u32 s7, s24, s16
	s_addc_u32 s1, s1, 0
	s_mul_i32 s0, s17, s0
	s_add_u32 s0, s7, s0
	s_addc_u32 s7, 0, s1
	s_add_u32 s16, s19, s0
	s_cselect_b64 s[0:1], -1, 0
	s_cmp_lg_u64 s[0:1], 0
	v_add_co_u32_e32 v10, vcc, v14, v18
	s_addc_u32 s7, s17, s7
	v_xor_b32_e32 v19, v10, v18
	v_mad_u64_u32 v[10:11], s[0:1], v19, s7, 0
	v_mul_hi_u32 v17, v19, s16
	v_addc_co_u32_e32 v16, vcc, v15, v18, vcc
	v_xor_b32_e32 v20, v16, v18
	v_add_co_u32_e32 v21, vcc, v17, v10
	v_addc_co_u32_e32 v22, vcc, 0, v11, vcc
	v_mad_u64_u32 v[10:11], s[0:1], v20, s16, 0
	v_mad_u64_u32 v[16:17], s[0:1], v20, s7, 0
	v_add_co_u32_e32 v10, vcc, v21, v10
	v_addc_co_u32_e32 v10, vcc, v22, v11, vcc
	v_addc_co_u32_e32 v11, vcc, 0, v17, vcc
	v_add_co_u32_e32 v16, vcc, v10, v16
	v_addc_co_u32_e32 v17, vcc, 0, v11, vcc
	v_mul_lo_u32 v21, s13, v16
	v_mul_lo_u32 v22, s12, v17
	v_mad_u64_u32 v[10:11], s[0:1], s12, v16, 0
	v_add3_u32 v11, v11, v22, v21
	v_sub_u32_e32 v21, v20, v11
	v_mov_b32_e32 v22, s13
	v_sub_co_u32_e32 v10, vcc, v19, v10
	v_subb_co_u32_e64 v19, s[0:1], v21, v22, vcc
	v_subrev_co_u32_e64 v21, s[0:1], s12, v10
	v_subbrev_co_u32_e64 v19, s[0:1], 0, v19, s[0:1]
	v_cmp_le_u32_e64 s[0:1], s13, v19
	v_cndmask_b32_e64 v22, 0, -1, s[0:1]
	v_cmp_le_u32_e64 s[0:1], s12, v21
	v_cndmask_b32_e64 v21, 0, -1, s[0:1]
	v_cmp_eq_u32_e64 s[0:1], s13, v19
	v_cndmask_b32_e64 v19, v22, v21, s[0:1]
	v_add_co_u32_e64 v21, s[0:1], 2, v16
	v_subb_co_u32_e32 v11, vcc, v20, v11, vcc
	v_addc_co_u32_e64 v22, s[0:1], 0, v17, s[0:1]
	v_cmp_le_u32_e32 vcc, s13, v11
	v_add_co_u32_e64 v23, s[0:1], 1, v16
	v_cndmask_b32_e64 v20, 0, -1, vcc
	v_cmp_le_u32_e32 vcc, s12, v10
	v_addc_co_u32_e64 v24, s[0:1], 0, v17, s[0:1]
	v_cndmask_b32_e64 v10, 0, -1, vcc
	v_cmp_eq_u32_e32 vcc, s13, v11
	v_cmp_ne_u32_e64 s[0:1], 0, v19
	v_cndmask_b32_e32 v10, v20, v10, vcc
	v_cndmask_b32_e64 v19, v24, v22, s[0:1]
	v_cmp_ne_u32_e32 vcc, 0, v10
	v_cndmask_b32_e64 v11, v23, v21, s[0:1]
	v_cndmask_b32_e32 v10, v17, v19, vcc
	v_cndmask_b32_e32 v11, v16, v11, vcc
	v_xor_b32_e32 v16, s6, v18
	v_xor_b32_e32 v17, v10, v16
	;; [unrolled: 1-line block ×3, first 2 shown]
	v_sub_co_u32_e32 v10, vcc, v10, v16
	v_subb_co_u32_e32 v11, vcc, v17, v16, vcc
.LBB1_23:
	s_andn2_saveexec_b64 s[0:1], s[2:3]
	s_cbranch_execz .LBB1_25
; %bb.24:
	v_cvt_f32_u32_e32 v10, s40
	s_sub_i32 s2, 0, s40
	v_rcp_iflag_f32_e32 v10, v10
	v_mul_f32_e32 v10, 0x4f7ffffe, v10
	v_cvt_u32_f32_e32 v10, v10
	v_mul_lo_u32 v11, s2, v10
	v_mul_hi_u32 v11, v10, v11
	v_add_u32_e32 v10, v10, v11
	v_mul_hi_u32 v10, v14, v10
	v_mul_lo_u32 v11, v10, s40
	v_add_u32_e32 v16, 1, v10
	v_sub_u32_e32 v11, v14, v11
	v_subrev_u32_e32 v17, s40, v11
	v_cmp_le_u32_e32 vcc, s40, v11
	v_cndmask_b32_e32 v11, v11, v17, vcc
	v_cndmask_b32_e32 v10, v10, v16, vcc
	v_add_u32_e32 v16, 1, v10
	v_cmp_le_u32_e32 vcc, s40, v11
	v_cndmask_b32_e32 v10, v10, v16, vcc
	v_mov_b32_e32 v11, 0
.LBB1_25:
	s_or_b64 exec, exec, s[0:1]
	v_mul_lo_u32 v18, v7, s14
	v_mul_lo_u32 v19, v6, s15
	v_mad_u64_u32 v[16:17], s[0:1], v6, s14, 0
	v_mul_lo_u32 v7, v7, s22
	v_mul_lo_u32 v3, v3, s36
	v_add3_u32 v17, v17, v19, v18
	v_sub_co_u32_e32 v12, vcc, v12, v16
	v_subb_co_u32_e32 v13, vcc, v13, v17, vcc
	v_ashrrev_i32_e32 v16, 31, v13
	v_lshrrev_b32_e32 v16, 27, v16
	v_add_co_u32_e32 v12, vcc, v12, v16
	v_addc_co_u32_e32 v13, vcc, 0, v13, vcc
	v_ashrrev_i64 v[12:13], 5, v[12:13]
	v_mov_b32_e32 v16, s8
	v_mov_b32_e32 v17, s9
	v_mul_lo_u32 v18, v12, s21
	v_mul_lo_u32 v19, v13, s20
	v_mad_u64_u32 v[12:13], s[0:1], v12, s20, v[16:17]
	v_mul_lo_u32 v1, v1, s38
	v_mul_lo_u32 v16, v11, s40
	v_add3_u32 v13, v19, v13, v18
	v_mad_u64_u32 v[12:13], s[0:1], v6, s22, v[12:13]
	v_mul_lo_u32 v6, v6, s23
	v_mul_lo_u32 v17, v10, s41
	;; [unrolled: 1-line block ×4, first 2 shown]
	v_add3_u32 v13, v7, v13, v6
	v_mad_u64_u32 v[6:7], s[0:1], v2, s36, v[12:13]
	v_mul_lo_u32 v2, v2, s37
	v_add3_u32 v7, v3, v7, v2
	v_mad_u64_u32 v[2:3], s[0:1], v0, s38, v[6:7]
	v_mul_lo_u32 v0, v0, s39
	v_mov_b32_e32 v6, s10
	v_mov_b32_e32 v7, s11
	v_add3_u32 v3, v1, v3, v0
	global_load_ushort v12, v[2:3], off
	global_load_ushort v13, v[2:3], off offset:2
	v_mad_u64_u32 v[0:1], s[0:1], v10, s40, 0
	v_add3_u32 v1, v1, v17, v16
	v_sub_co_u32_e32 v0, vcc, v14, v0
	v_subb_co_u32_e32 v14, vcc, v15, v1, vcc
	v_mul_lo_u32 v15, v0, s47
	v_mad_u64_u32 v[0:1], s[0:1], v0, s46, v[6:7]
	v_mul_lo_u32 v6, v14, s46
	v_mul_lo_u32 v7, v10, s49
	v_add3_u32 v1, v6, v1, v15
	v_mad_u64_u32 v[0:1], s[0:1], v10, s48, v[0:1]
	s_load_dwordx2 s[0:1], s[4:5], 0x80
	v_mul_lo_u32 v6, v4, s51
	v_add3_u32 v1, v11, v1, v7
	v_mad_u64_u32 v[0:1], s[2:3], v4, s50, v[0:1]
	s_waitcnt lgkmcnt(0)
	v_mul_lo_u32 v4, v8, s1
	v_mul_lo_u32 v7, v9, s0
	v_add3_u32 v1, v5, v1, v6
	v_mad_u64_u32 v[0:1], s[0:1], v8, s0, v[0:1]
	v_add3_u32 v1, v7, v1, v4
	s_waitcnt vmcnt(1)
	v_cvt_f32_f16_e32 v5, v12
	s_waitcnt vmcnt(0)
	v_bfe_i32 v6, v13, 0, 8
	v_ashrrev_i16_e32 v8, 8, v13
	v_cvt_f32_i32_sdwa v6, sext(v6) dst_sel:DWORD dst_unused:UNUSED_PAD src0_sel:WORD_0
	v_cvt_f32_i32_sdwa v8, sext(v8) dst_sel:DWORD dst_unused:UNUSED_PAD src0_sel:WORD_0
	v_mul_f32_e32 v4, v5, v6
	v_mul_f32_e32 v5, v5, v8
	global_store_dwordx2 v[0:1], v[4:5], off
	global_load_ushort v4, v[2:3], off
	s_nop 0
	global_load_ushort v5, v[2:3], off offset:4
	s_waitcnt vmcnt(1)
	v_cvt_f32_f16_e32 v6, v4
	s_waitcnt vmcnt(0)
	v_bfe_i32 v4, v5, 0, 8
	v_ashrrev_i16_e32 v5, 8, v5
	v_cvt_f32_i32_sdwa v4, sext(v4) dst_sel:DWORD dst_unused:UNUSED_PAD src0_sel:WORD_0
	v_cvt_f32_i32_sdwa v5, sext(v5) dst_sel:DWORD dst_unused:UNUSED_PAD src0_sel:WORD_0
	v_mul_f32_e32 v4, v6, v4
	v_mul_f32_e32 v5, v6, v5
	global_store_dwordx2 v[0:1], v[4:5], off offset:8
	global_load_ushort v4, v[2:3], off
	s_nop 0
	global_load_ushort v5, v[2:3], off offset:6
	s_waitcnt vmcnt(1)
	v_cvt_f32_f16_e32 v6, v4
	s_waitcnt vmcnt(0)
	v_bfe_i32 v4, v5, 0, 8
	v_ashrrev_i16_e32 v5, 8, v5
	v_cvt_f32_i32_sdwa v4, sext(v4) dst_sel:DWORD dst_unused:UNUSED_PAD src0_sel:WORD_0
	v_cvt_f32_i32_sdwa v5, sext(v5) dst_sel:DWORD dst_unused:UNUSED_PAD src0_sel:WORD_0
	v_mul_f32_e32 v4, v6, v4
	v_mul_f32_e32 v5, v6, v5
	global_store_dwordx2 v[0:1], v[4:5], off offset:16
	;; [unrolled: 13-line block ×15, first 2 shown]
.LBB1_26:
	s_endpgm
	.section	.rodata,"a",@progbits
	.p2align	6, 0x0
	.amdhsa_kernel _ZL9cpy_q_f32IXadL_ZL17cpy_blck_q8_0_f32PKcPcEELi32EEvS1_S2_lllllllllllllll
		.amdhsa_group_segment_fixed_size 0
		.amdhsa_private_segment_fixed_size 0
		.amdhsa_kernarg_size 392
		.amdhsa_user_sgpr_count 6
		.amdhsa_user_sgpr_private_segment_buffer 1
		.amdhsa_user_sgpr_dispatch_ptr 0
		.amdhsa_user_sgpr_queue_ptr 0
		.amdhsa_user_sgpr_kernarg_segment_ptr 1
		.amdhsa_user_sgpr_dispatch_id 0
		.amdhsa_user_sgpr_flat_scratch_init 0
		.amdhsa_user_sgpr_private_segment_size 0
		.amdhsa_uses_dynamic_stack 0
		.amdhsa_system_sgpr_private_segment_wavefront_offset 0
		.amdhsa_system_sgpr_workgroup_id_x 1
		.amdhsa_system_sgpr_workgroup_id_y 0
		.amdhsa_system_sgpr_workgroup_id_z 0
		.amdhsa_system_sgpr_workgroup_info 0
		.amdhsa_system_vgpr_workitem_id 0
		.amdhsa_next_free_vgpr 25
		.amdhsa_next_free_sgpr 52
		.amdhsa_reserve_vcc 1
		.amdhsa_reserve_flat_scratch 0
		.amdhsa_float_round_mode_32 0
		.amdhsa_float_round_mode_16_64 0
		.amdhsa_float_denorm_mode_32 3
		.amdhsa_float_denorm_mode_16_64 3
		.amdhsa_dx10_clamp 1
		.amdhsa_ieee_mode 1
		.amdhsa_fp16_overflow 0
		.amdhsa_exception_fp_ieee_invalid_op 0
		.amdhsa_exception_fp_denorm_src 0
		.amdhsa_exception_fp_ieee_div_zero 0
		.amdhsa_exception_fp_ieee_overflow 0
		.amdhsa_exception_fp_ieee_underflow 0
		.amdhsa_exception_fp_ieee_inexact 0
		.amdhsa_exception_int_div_zero 0
	.end_amdhsa_kernel
	.section	.text._ZL9cpy_q_f32IXadL_ZL17cpy_blck_q8_0_f32PKcPcEELi32EEvS1_S2_lllllllllllllll,"axG",@progbits,_ZL9cpy_q_f32IXadL_ZL17cpy_blck_q8_0_f32PKcPcEELi32EEvS1_S2_lllllllllllllll,comdat
.Lfunc_end1:
	.size	_ZL9cpy_q_f32IXadL_ZL17cpy_blck_q8_0_f32PKcPcEELi32EEvS1_S2_lllllllllllllll, .Lfunc_end1-_ZL9cpy_q_f32IXadL_ZL17cpy_blck_q8_0_f32PKcPcEELi32EEvS1_S2_lllllllllllllll
                                        ; -- End function
	.set _ZL9cpy_q_f32IXadL_ZL17cpy_blck_q8_0_f32PKcPcEELi32EEvS1_S2_lllllllllllllll.num_vgpr, 25
	.set _ZL9cpy_q_f32IXadL_ZL17cpy_blck_q8_0_f32PKcPcEELi32EEvS1_S2_lllllllllllllll.num_agpr, 0
	.set _ZL9cpy_q_f32IXadL_ZL17cpy_blck_q8_0_f32PKcPcEELi32EEvS1_S2_lllllllllllllll.numbered_sgpr, 52
	.set _ZL9cpy_q_f32IXadL_ZL17cpy_blck_q8_0_f32PKcPcEELi32EEvS1_S2_lllllllllllllll.num_named_barrier, 0
	.set _ZL9cpy_q_f32IXadL_ZL17cpy_blck_q8_0_f32PKcPcEELi32EEvS1_S2_lllllllllllllll.private_seg_size, 0
	.set _ZL9cpy_q_f32IXadL_ZL17cpy_blck_q8_0_f32PKcPcEELi32EEvS1_S2_lllllllllllllll.uses_vcc, 1
	.set _ZL9cpy_q_f32IXadL_ZL17cpy_blck_q8_0_f32PKcPcEELi32EEvS1_S2_lllllllllllllll.uses_flat_scratch, 0
	.set _ZL9cpy_q_f32IXadL_ZL17cpy_blck_q8_0_f32PKcPcEELi32EEvS1_S2_lllllllllllllll.has_dyn_sized_stack, 0
	.set _ZL9cpy_q_f32IXadL_ZL17cpy_blck_q8_0_f32PKcPcEELi32EEvS1_S2_lllllllllllllll.has_recursion, 0
	.set _ZL9cpy_q_f32IXadL_ZL17cpy_blck_q8_0_f32PKcPcEELi32EEvS1_S2_lllllllllllllll.has_indirect_call, 0
	.section	.AMDGPU.csdata,"",@progbits
; Kernel info:
; codeLenInByte = 6420
; TotalNumSgprs: 56
; NumVgprs: 25
; ScratchSize: 0
; MemoryBound: 0
; FloatMode: 240
; IeeeMode: 1
; LDSByteSize: 0 bytes/workgroup (compile time only)
; SGPRBlocks: 6
; VGPRBlocks: 6
; NumSGPRsForWavesPerEU: 56
; NumVGPRsForWavesPerEU: 25
; Occupancy: 9
; WaveLimiterHint : 0
; COMPUTE_PGM_RSRC2:SCRATCH_EN: 0
; COMPUTE_PGM_RSRC2:USER_SGPR: 6
; COMPUTE_PGM_RSRC2:TRAP_HANDLER: 0
; COMPUTE_PGM_RSRC2:TGID_X_EN: 1
; COMPUTE_PGM_RSRC2:TGID_Y_EN: 0
; COMPUTE_PGM_RSRC2:TGID_Z_EN: 0
; COMPUTE_PGM_RSRC2:TIDIG_COMP_CNT: 0
	.section	.text._ZL9cpy_f32_qIXadL_ZL17cpy_blck_f32_q4_0PKcPcEELi32EEvS1_S2_lllllllllllllll,"axG",@progbits,_ZL9cpy_f32_qIXadL_ZL17cpy_blck_f32_q4_0PKcPcEELi32EEvS1_S2_lllllllllllllll,comdat
	.globl	_ZL9cpy_f32_qIXadL_ZL17cpy_blck_f32_q4_0PKcPcEELi32EEvS1_S2_lllllllllllllll ; -- Begin function _ZL9cpy_f32_qIXadL_ZL17cpy_blck_f32_q4_0PKcPcEELi32EEvS1_S2_lllllllllllllll
	.p2align	8
	.type	_ZL9cpy_f32_qIXadL_ZL17cpy_blck_f32_q4_0PKcPcEELi32EEvS1_S2_lllllllllllllll,@function
_ZL9cpy_f32_qIXadL_ZL17cpy_blck_f32_q4_0PKcPcEELi32EEvS1_S2_lllllllllllllll: ; @_ZL9cpy_f32_qIXadL_ZL17cpy_blck_f32_q4_0PKcPcEELi32EEvS1_S2_lllllllllllllll
; %bb.0:
	s_load_dword s0, s[4:5], 0x94
	v_mov_b32_e32 v2, 0
	v_mov_b32_e32 v1, v2
	v_mov_b32_e32 v3, s6
	s_load_dwordx16 s[8:23], s[4:5], 0x0
	s_waitcnt lgkmcnt(0)
	s_and_b32 s0, s0, 0xffff
	v_mad_u64_u32 v[0:1], s[0:1], s0, v3, v[0:1]
	v_lshlrev_b64 v[4:5], 5, v[0:1]
	v_cmp_gt_i64_e32 vcc, s[12:13], v[4:5]
	s_and_saveexec_b64 s[0:1], vcc
	s_cbranch_execz .LBB2_26
; %bb.1:
	s_mul_i32 s0, s16, s15
	s_mul_hi_u32 s1, s16, s14
	s_add_i32 s0, s1, s0
	s_mul_i32 s1, s17, s14
	s_mul_i32 s16, s16, s14
	s_add_i32 s17, s0, s1
	s_mul_i32 s0, s16, s19
	s_mul_hi_u32 s1, s16, s18
	s_add_i32 s0, s1, s0
	s_mul_i32 s1, s17, s18
	s_add_i32 s19, s0, s1
	v_or_b32_e32 v3, s19, v5
	v_cmp_ne_u64_e32 vcc, 0, v[2:3]
	s_mul_i32 s18, s16, s18
	v_ashrrev_i32_e32 v10, 31, v5
                                        ; implicit-def: $vgpr0_vgpr1
	s_and_saveexec_b64 s[0:1], vcc
	s_xor_b64 s[2:3], exec, s[0:1]
	s_cbranch_execz .LBB2_3
; %bb.2:
	s_ashr_i32 s6, s19, 31
	s_add_u32 s0, s18, s6
	s_mov_b32 s7, s6
	s_addc_u32 s1, s19, s6
	s_xor_b64 s[12:13], s[0:1], s[6:7]
	v_cvt_f32_u32_e32 v0, s12
	v_cvt_f32_u32_e32 v1, s13
	s_sub_u32 s7, 0, s12
	s_subb_u32 s24, 0, s13
	v_madmk_f32 v0, v1, 0x4f800000, v0
	v_rcp_f32_e32 v0, v0
	v_mul_f32_e32 v0, 0x5f7ffffc, v0
	v_mul_f32_e32 v1, 0x2f800000, v0
	v_trunc_f32_e32 v1, v1
	v_madmk_f32 v0, v1, 0xcf800000, v0
	v_cvt_u32_f32_e32 v1, v1
	v_cvt_u32_f32_e32 v0, v0
	v_readfirstlane_b32 s25, v1
	v_readfirstlane_b32 s0, v0
	s_mul_i32 s1, s7, s25
	s_mul_hi_u32 s27, s7, s0
	s_mul_i32 s26, s24, s0
	s_add_i32 s1, s27, s1
	s_add_i32 s1, s1, s26
	s_mul_i32 s28, s7, s0
	s_mul_i32 s27, s0, s1
	s_mul_hi_u32 s29, s0, s28
	s_mul_hi_u32 s26, s0, s1
	s_add_u32 s27, s29, s27
	s_addc_u32 s26, 0, s26
	s_mul_hi_u32 s30, s25, s28
	s_mul_i32 s28, s25, s28
	s_add_u32 s27, s27, s28
	s_mul_hi_u32 s29, s25, s1
	s_addc_u32 s26, s26, s30
	s_addc_u32 s27, s29, 0
	s_mul_i32 s1, s25, s1
	s_add_u32 s1, s26, s1
	s_addc_u32 s26, 0, s27
	s_add_u32 s27, s0, s1
	s_cselect_b64 s[0:1], -1, 0
	s_cmp_lg_u64 s[0:1], 0
	s_addc_u32 s25, s25, s26
	s_mul_i32 s0, s7, s25
	s_mul_hi_u32 s1, s7, s27
	s_add_i32 s0, s1, s0
	s_mul_i32 s24, s24, s27
	s_add_i32 s0, s0, s24
	s_mul_i32 s7, s7, s27
	s_mul_hi_u32 s24, s25, s7
	s_mul_i32 s26, s25, s7
	s_mul_i32 s29, s27, s0
	s_mul_hi_u32 s7, s27, s7
	s_mul_hi_u32 s28, s27, s0
	s_add_u32 s7, s7, s29
	s_addc_u32 s28, 0, s28
	s_add_u32 s7, s7, s26
	s_mul_hi_u32 s1, s25, s0
	s_addc_u32 s7, s28, s24
	s_addc_u32 s1, s1, 0
	s_mul_i32 s0, s25, s0
	s_add_u32 s0, s7, s0
	s_addc_u32 s7, 0, s1
	s_add_u32 s24, s27, s0
	s_cselect_b64 s[0:1], -1, 0
	s_cmp_lg_u64 s[0:1], 0
	v_add_co_u32_e32 v0, vcc, v4, v10
	s_addc_u32 s7, s25, s7
	v_xor_b32_e32 v6, v0, v10
	v_mad_u64_u32 v[0:1], s[0:1], v6, s7, 0
	v_mul_hi_u32 v3, v6, s24
	v_addc_co_u32_e32 v2, vcc, v5, v10, vcc
	v_xor_b32_e32 v7, v2, v10
	v_add_co_u32_e32 v8, vcc, v3, v0
	v_addc_co_u32_e32 v9, vcc, 0, v1, vcc
	v_mad_u64_u32 v[0:1], s[0:1], v7, s24, 0
	v_mad_u64_u32 v[2:3], s[0:1], v7, s7, 0
	v_add_co_u32_e32 v0, vcc, v8, v0
	v_addc_co_u32_e32 v0, vcc, v9, v1, vcc
	v_addc_co_u32_e32 v1, vcc, 0, v3, vcc
	v_add_co_u32_e32 v2, vcc, v0, v2
	v_addc_co_u32_e32 v3, vcc, 0, v1, vcc
	v_mul_lo_u32 v8, s13, v2
	v_mul_lo_u32 v9, s12, v3
	v_mad_u64_u32 v[0:1], s[0:1], s12, v2, 0
	v_add3_u32 v1, v1, v9, v8
	v_sub_u32_e32 v8, v7, v1
	v_mov_b32_e32 v9, s13
	v_sub_co_u32_e32 v0, vcc, v6, v0
	v_subb_co_u32_e64 v6, s[0:1], v8, v9, vcc
	v_subrev_co_u32_e64 v8, s[0:1], s12, v0
	v_subbrev_co_u32_e64 v6, s[0:1], 0, v6, s[0:1]
	v_cmp_le_u32_e64 s[0:1], s13, v6
	v_cndmask_b32_e64 v9, 0, -1, s[0:1]
	v_cmp_le_u32_e64 s[0:1], s12, v8
	v_cndmask_b32_e64 v8, 0, -1, s[0:1]
	v_cmp_eq_u32_e64 s[0:1], s13, v6
	v_cndmask_b32_e64 v6, v9, v8, s[0:1]
	v_add_co_u32_e64 v8, s[0:1], 2, v2
	v_subb_co_u32_e32 v1, vcc, v7, v1, vcc
	v_addc_co_u32_e64 v9, s[0:1], 0, v3, s[0:1]
	v_cmp_le_u32_e32 vcc, s13, v1
	v_add_co_u32_e64 v11, s[0:1], 1, v2
	v_cndmask_b32_e64 v7, 0, -1, vcc
	v_cmp_le_u32_e32 vcc, s12, v0
	v_addc_co_u32_e64 v12, s[0:1], 0, v3, s[0:1]
	v_cndmask_b32_e64 v0, 0, -1, vcc
	v_cmp_eq_u32_e32 vcc, s13, v1
	v_cmp_ne_u32_e64 s[0:1], 0, v6
	v_cndmask_b32_e32 v0, v7, v0, vcc
	v_cndmask_b32_e64 v6, v12, v9, s[0:1]
	v_cmp_ne_u32_e32 vcc, 0, v0
	v_cndmask_b32_e64 v1, v11, v8, s[0:1]
	v_cndmask_b32_e32 v0, v3, v6, vcc
	v_cndmask_b32_e32 v1, v2, v1, vcc
	v_xor_b32_e32 v2, s6, v10
	v_xor_b32_e32 v3, v0, v2
	;; [unrolled: 1-line block ×3, first 2 shown]
	v_sub_co_u32_e32 v0, vcc, v0, v2
	v_subb_co_u32_e32 v1, vcc, v3, v2, vcc
.LBB2_3:
	s_andn2_saveexec_b64 s[0:1], s[2:3]
	s_cbranch_execz .LBB2_5
; %bb.4:
	v_cvt_f32_u32_e32 v0, s18
	s_sub_i32 s2, 0, s18
	v_rcp_iflag_f32_e32 v0, v0
	v_mul_f32_e32 v0, 0x4f7ffffe, v0
	v_cvt_u32_f32_e32 v0, v0
	v_mul_lo_u32 v1, s2, v0
	v_mul_hi_u32 v1, v0, v1
	v_add_u32_e32 v0, v0, v1
	v_mul_hi_u32 v0, v4, v0
	v_mul_lo_u32 v1, v0, s18
	v_add_u32_e32 v2, 1, v0
	v_sub_u32_e32 v1, v4, v1
	v_subrev_u32_e32 v3, s18, v1
	v_cmp_le_u32_e32 vcc, s18, v1
	v_cndmask_b32_e32 v1, v1, v3, vcc
	v_cndmask_b32_e32 v0, v0, v2, vcc
	v_add_u32_e32 v2, 1, v0
	v_cmp_le_u32_e32 vcc, s18, v1
	v_cndmask_b32_e32 v0, v0, v2, vcc
	v_mov_b32_e32 v1, 0
.LBB2_5:
	s_or_b64 exec, exec, s[0:1]
	v_mul_lo_u32 v6, s19, v0
	v_mul_lo_u32 v7, s18, v1
	v_mad_u64_u32 v[2:3], s[0:1], s18, v0, 0
	v_add3_u32 v3, v3, v7, v6
	v_sub_co_u32_e32 v6, vcc, v4, v2
	v_subb_co_u32_e32 v7, vcc, v5, v3, vcc
	v_or_b32_e32 v3, s17, v7
	v_mov_b32_e32 v2, 0
	v_cmp_ne_u64_e32 vcc, 0, v[2:3]
                                        ; implicit-def: $vgpr2_vgpr3
	s_and_saveexec_b64 s[0:1], vcc
	s_xor_b64 s[2:3], exec, s[0:1]
	s_cbranch_execz .LBB2_7
; %bb.6:
	s_ashr_i32 s6, s17, 31
	s_add_u32 s0, s16, s6
	s_mov_b32 s7, s6
	s_addc_u32 s1, s17, s6
	s_xor_b64 s[12:13], s[0:1], s[6:7]
	v_cvt_f32_u32_e32 v2, s12
	v_cvt_f32_u32_e32 v3, s13
	s_sub_u32 s7, 0, s12
	s_subb_u32 s18, 0, s13
	v_ashrrev_i32_e32 v11, 31, v7
	v_madmk_f32 v2, v3, 0x4f800000, v2
	v_rcp_f32_e32 v2, v2
	v_mul_f32_e32 v2, 0x5f7ffffc, v2
	v_mul_f32_e32 v3, 0x2f800000, v2
	v_trunc_f32_e32 v3, v3
	v_madmk_f32 v2, v3, 0xcf800000, v2
	v_cvt_u32_f32_e32 v3, v3
	v_cvt_u32_f32_e32 v2, v2
	v_readfirstlane_b32 s19, v3
	v_readfirstlane_b32 s0, v2
	s_mul_i32 s1, s7, s19
	s_mul_hi_u32 s25, s7, s0
	s_mul_i32 s24, s18, s0
	s_add_i32 s1, s25, s1
	s_add_i32 s1, s1, s24
	s_mul_i32 s26, s7, s0
	s_mul_i32 s25, s0, s1
	s_mul_hi_u32 s27, s0, s26
	s_mul_hi_u32 s24, s0, s1
	s_add_u32 s25, s27, s25
	s_addc_u32 s24, 0, s24
	s_mul_hi_u32 s28, s19, s26
	s_mul_i32 s26, s19, s26
	s_add_u32 s25, s25, s26
	s_mul_hi_u32 s27, s19, s1
	s_addc_u32 s24, s24, s28
	s_addc_u32 s25, s27, 0
	s_mul_i32 s1, s19, s1
	s_add_u32 s1, s24, s1
	s_addc_u32 s24, 0, s25
	s_add_u32 s25, s0, s1
	s_cselect_b64 s[0:1], -1, 0
	s_cmp_lg_u64 s[0:1], 0
	s_addc_u32 s19, s19, s24
	s_mul_i32 s0, s7, s19
	s_mul_hi_u32 s1, s7, s25
	s_add_i32 s0, s1, s0
	s_mul_i32 s18, s18, s25
	s_add_i32 s0, s0, s18
	s_mul_i32 s7, s7, s25
	s_mul_hi_u32 s18, s19, s7
	s_mul_i32 s24, s19, s7
	s_mul_i32 s27, s25, s0
	s_mul_hi_u32 s7, s25, s7
	s_mul_hi_u32 s26, s25, s0
	s_add_u32 s7, s7, s27
	s_addc_u32 s26, 0, s26
	s_add_u32 s7, s7, s24
	s_mul_hi_u32 s1, s19, s0
	s_addc_u32 s7, s26, s18
	s_addc_u32 s1, s1, 0
	s_mul_i32 s0, s19, s0
	s_add_u32 s0, s7, s0
	s_addc_u32 s7, 0, s1
	s_add_u32 s18, s25, s0
	s_cselect_b64 s[0:1], -1, 0
	s_cmp_lg_u64 s[0:1], 0
	v_add_co_u32_e32 v2, vcc, v6, v11
	s_addc_u32 s7, s19, s7
	v_xor_b32_e32 v12, v2, v11
	v_mad_u64_u32 v[2:3], s[0:1], v12, s7, 0
	v_mul_hi_u32 v9, v12, s18
	v_addc_co_u32_e32 v8, vcc, v7, v11, vcc
	v_xor_b32_e32 v13, v8, v11
	v_add_co_u32_e32 v14, vcc, v9, v2
	v_addc_co_u32_e32 v15, vcc, 0, v3, vcc
	v_mad_u64_u32 v[2:3], s[0:1], v13, s18, 0
	v_mad_u64_u32 v[8:9], s[0:1], v13, s7, 0
	v_add_co_u32_e32 v2, vcc, v14, v2
	v_addc_co_u32_e32 v2, vcc, v15, v3, vcc
	v_addc_co_u32_e32 v3, vcc, 0, v9, vcc
	v_add_co_u32_e32 v8, vcc, v2, v8
	v_addc_co_u32_e32 v9, vcc, 0, v3, vcc
	v_mul_lo_u32 v14, s13, v8
	v_mul_lo_u32 v15, s12, v9
	v_mad_u64_u32 v[2:3], s[0:1], s12, v8, 0
	v_add3_u32 v3, v3, v15, v14
	v_sub_u32_e32 v14, v13, v3
	v_mov_b32_e32 v15, s13
	v_sub_co_u32_e32 v2, vcc, v12, v2
	v_subb_co_u32_e64 v12, s[0:1], v14, v15, vcc
	v_subrev_co_u32_e64 v14, s[0:1], s12, v2
	v_subbrev_co_u32_e64 v12, s[0:1], 0, v12, s[0:1]
	v_cmp_le_u32_e64 s[0:1], s13, v12
	v_cndmask_b32_e64 v15, 0, -1, s[0:1]
	v_cmp_le_u32_e64 s[0:1], s12, v14
	v_cndmask_b32_e64 v14, 0, -1, s[0:1]
	v_cmp_eq_u32_e64 s[0:1], s13, v12
	v_cndmask_b32_e64 v12, v15, v14, s[0:1]
	v_add_co_u32_e64 v14, s[0:1], 2, v8
	v_subb_co_u32_e32 v3, vcc, v13, v3, vcc
	v_addc_co_u32_e64 v15, s[0:1], 0, v9, s[0:1]
	v_cmp_le_u32_e32 vcc, s13, v3
	v_add_co_u32_e64 v16, s[0:1], 1, v8
	v_cndmask_b32_e64 v13, 0, -1, vcc
	v_cmp_le_u32_e32 vcc, s12, v2
	v_addc_co_u32_e64 v17, s[0:1], 0, v9, s[0:1]
	v_cndmask_b32_e64 v2, 0, -1, vcc
	v_cmp_eq_u32_e32 vcc, s13, v3
	v_cmp_ne_u32_e64 s[0:1], 0, v12
	v_cndmask_b32_e32 v2, v13, v2, vcc
	v_cndmask_b32_e64 v12, v17, v15, s[0:1]
	v_cmp_ne_u32_e32 vcc, 0, v2
	v_cndmask_b32_e64 v3, v16, v14, s[0:1]
	v_cndmask_b32_e32 v2, v9, v12, vcc
	v_cndmask_b32_e32 v3, v8, v3, vcc
	v_xor_b32_e32 v8, s6, v11
	v_xor_b32_e32 v9, v2, v8
	;; [unrolled: 1-line block ×3, first 2 shown]
	v_sub_co_u32_e32 v2, vcc, v2, v8
	v_subb_co_u32_e32 v3, vcc, v9, v8, vcc
.LBB2_7:
	s_andn2_saveexec_b64 s[0:1], s[2:3]
	s_cbranch_execz .LBB2_9
; %bb.8:
	v_cvt_f32_u32_e32 v2, s16
	s_sub_i32 s2, 0, s16
	v_rcp_iflag_f32_e32 v2, v2
	v_mul_f32_e32 v2, 0x4f7ffffe, v2
	v_cvt_u32_f32_e32 v2, v2
	v_mul_lo_u32 v3, s2, v2
	v_mul_hi_u32 v3, v2, v3
	v_add_u32_e32 v2, v2, v3
	v_mul_hi_u32 v2, v6, v2
	v_mul_lo_u32 v3, v2, s16
	v_add_u32_e32 v8, 1, v2
	v_sub_u32_e32 v3, v6, v3
	v_subrev_u32_e32 v9, s16, v3
	v_cmp_le_u32_e32 vcc, s16, v3
	v_cndmask_b32_e32 v3, v3, v9, vcc
	v_cndmask_b32_e32 v2, v2, v8, vcc
	v_add_u32_e32 v8, 1, v2
	v_cmp_le_u32_e32 vcc, s16, v3
	v_cndmask_b32_e32 v2, v2, v8, vcc
	v_mov_b32_e32 v3, 0
.LBB2_9:
	s_or_b64 exec, exec, s[0:1]
	v_mul_lo_u32 v11, s17, v2
	v_mul_lo_u32 v12, s16, v3
	v_mad_u64_u32 v[8:9], s[0:1], s16, v2, 0
	v_add3_u32 v9, v9, v12, v11
	v_sub_co_u32_e32 v8, vcc, v6, v8
	v_subb_co_u32_e32 v9, vcc, v7, v9, vcc
	v_or_b32_e32 v7, s15, v9
	v_mov_b32_e32 v6, 0
	v_cmp_ne_u64_e32 vcc, 0, v[6:7]
                                        ; implicit-def: $vgpr6_vgpr7
	s_and_saveexec_b64 s[0:1], vcc
	s_xor_b64 s[2:3], exec, s[0:1]
	s_cbranch_execz .LBB2_11
; %bb.10:
	s_ashr_i32 s6, s15, 31
	s_add_u32 s0, s14, s6
	s_mov_b32 s7, s6
	s_addc_u32 s1, s15, s6
	s_xor_b64 s[12:13], s[0:1], s[6:7]
	v_cvt_f32_u32_e32 v6, s12
	v_cvt_f32_u32_e32 v7, s13
	s_sub_u32 s7, 0, s12
	s_subb_u32 s16, 0, s13
	v_ashrrev_i32_e32 v13, 31, v9
	v_madmk_f32 v6, v7, 0x4f800000, v6
	v_rcp_f32_e32 v6, v6
	v_mul_f32_e32 v6, 0x5f7ffffc, v6
	v_mul_f32_e32 v7, 0x2f800000, v6
	v_trunc_f32_e32 v7, v7
	v_madmk_f32 v6, v7, 0xcf800000, v6
	v_cvt_u32_f32_e32 v7, v7
	v_cvt_u32_f32_e32 v6, v6
	v_readfirstlane_b32 s17, v7
	v_readfirstlane_b32 s0, v6
	s_mul_i32 s1, s7, s17
	s_mul_hi_u32 s19, s7, s0
	s_mul_i32 s18, s16, s0
	s_add_i32 s1, s19, s1
	s_add_i32 s1, s1, s18
	s_mul_i32 s24, s7, s0
	s_mul_i32 s19, s0, s1
	s_mul_hi_u32 s25, s0, s24
	s_mul_hi_u32 s18, s0, s1
	s_add_u32 s19, s25, s19
	s_addc_u32 s18, 0, s18
	s_mul_hi_u32 s26, s17, s24
	s_mul_i32 s24, s17, s24
	s_add_u32 s19, s19, s24
	s_mul_hi_u32 s25, s17, s1
	s_addc_u32 s18, s18, s26
	s_addc_u32 s19, s25, 0
	s_mul_i32 s1, s17, s1
	s_add_u32 s1, s18, s1
	s_addc_u32 s18, 0, s19
	s_add_u32 s19, s0, s1
	s_cselect_b64 s[0:1], -1, 0
	s_cmp_lg_u64 s[0:1], 0
	s_addc_u32 s17, s17, s18
	s_mul_i32 s0, s7, s17
	s_mul_hi_u32 s1, s7, s19
	s_add_i32 s0, s1, s0
	s_mul_i32 s16, s16, s19
	s_add_i32 s0, s0, s16
	s_mul_i32 s7, s7, s19
	s_mul_hi_u32 s16, s17, s7
	s_mul_i32 s18, s17, s7
	s_mul_i32 s25, s19, s0
	s_mul_hi_u32 s7, s19, s7
	s_mul_hi_u32 s24, s19, s0
	s_add_u32 s7, s7, s25
	s_addc_u32 s24, 0, s24
	s_add_u32 s7, s7, s18
	s_mul_hi_u32 s1, s17, s0
	s_addc_u32 s7, s24, s16
	s_addc_u32 s1, s1, 0
	s_mul_i32 s0, s17, s0
	s_add_u32 s0, s7, s0
	s_addc_u32 s7, 0, s1
	s_add_u32 s16, s19, s0
	s_cselect_b64 s[0:1], -1, 0
	s_cmp_lg_u64 s[0:1], 0
	v_add_co_u32_e32 v6, vcc, v8, v13
	s_addc_u32 s7, s17, s7
	v_xor_b32_e32 v14, v6, v13
	v_mad_u64_u32 v[6:7], s[0:1], v14, s7, 0
	v_mul_hi_u32 v12, v14, s16
	v_addc_co_u32_e32 v11, vcc, v9, v13, vcc
	v_xor_b32_e32 v15, v11, v13
	v_add_co_u32_e32 v16, vcc, v12, v6
	v_addc_co_u32_e32 v17, vcc, 0, v7, vcc
	v_mad_u64_u32 v[6:7], s[0:1], v15, s16, 0
	v_mad_u64_u32 v[11:12], s[0:1], v15, s7, 0
	v_add_co_u32_e32 v6, vcc, v16, v6
	v_addc_co_u32_e32 v6, vcc, v17, v7, vcc
	v_addc_co_u32_e32 v7, vcc, 0, v12, vcc
	v_add_co_u32_e32 v11, vcc, v6, v11
	v_addc_co_u32_e32 v12, vcc, 0, v7, vcc
	v_mul_lo_u32 v16, s13, v11
	v_mul_lo_u32 v17, s12, v12
	v_mad_u64_u32 v[6:7], s[0:1], s12, v11, 0
	v_add3_u32 v7, v7, v17, v16
	v_sub_u32_e32 v16, v15, v7
	v_mov_b32_e32 v17, s13
	v_sub_co_u32_e32 v6, vcc, v14, v6
	v_subb_co_u32_e64 v14, s[0:1], v16, v17, vcc
	v_subrev_co_u32_e64 v16, s[0:1], s12, v6
	v_subbrev_co_u32_e64 v14, s[0:1], 0, v14, s[0:1]
	v_cmp_le_u32_e64 s[0:1], s13, v14
	v_cndmask_b32_e64 v17, 0, -1, s[0:1]
	v_cmp_le_u32_e64 s[0:1], s12, v16
	v_cndmask_b32_e64 v16, 0, -1, s[0:1]
	v_cmp_eq_u32_e64 s[0:1], s13, v14
	v_cndmask_b32_e64 v14, v17, v16, s[0:1]
	v_add_co_u32_e64 v16, s[0:1], 2, v11
	v_subb_co_u32_e32 v7, vcc, v15, v7, vcc
	v_addc_co_u32_e64 v17, s[0:1], 0, v12, s[0:1]
	v_cmp_le_u32_e32 vcc, s13, v7
	v_add_co_u32_e64 v18, s[0:1], 1, v11
	v_cndmask_b32_e64 v15, 0, -1, vcc
	v_cmp_le_u32_e32 vcc, s12, v6
	v_addc_co_u32_e64 v19, s[0:1], 0, v12, s[0:1]
	v_cndmask_b32_e64 v6, 0, -1, vcc
	v_cmp_eq_u32_e32 vcc, s13, v7
	v_cmp_ne_u32_e64 s[0:1], 0, v14
	v_cndmask_b32_e32 v6, v15, v6, vcc
	v_cndmask_b32_e64 v14, v19, v17, s[0:1]
	v_cmp_ne_u32_e32 vcc, 0, v6
	v_cndmask_b32_e64 v7, v18, v16, s[0:1]
	v_cndmask_b32_e32 v6, v12, v14, vcc
	v_cndmask_b32_e32 v7, v11, v7, vcc
	v_xor_b32_e32 v11, s6, v13
	v_xor_b32_e32 v12, v6, v11
	;; [unrolled: 1-line block ×3, first 2 shown]
	v_sub_co_u32_e32 v6, vcc, v6, v11
	v_subb_co_u32_e32 v7, vcc, v12, v11, vcc
.LBB2_11:
	s_andn2_saveexec_b64 s[0:1], s[2:3]
	s_cbranch_execz .LBB2_13
; %bb.12:
	v_cvt_f32_u32_e32 v6, s14
	s_sub_i32 s2, 0, s14
	v_rcp_iflag_f32_e32 v6, v6
	v_mul_f32_e32 v6, 0x4f7ffffe, v6
	v_cvt_u32_f32_e32 v6, v6
	v_mul_lo_u32 v7, s2, v6
	v_mul_hi_u32 v7, v6, v7
	v_add_u32_e32 v6, v6, v7
	v_mul_hi_u32 v6, v8, v6
	v_mul_lo_u32 v7, v6, s14
	v_add_u32_e32 v11, 1, v6
	v_sub_u32_e32 v7, v8, v7
	v_subrev_u32_e32 v12, s14, v7
	v_cmp_le_u32_e32 vcc, s14, v7
	v_cndmask_b32_e32 v7, v7, v12, vcc
	v_cndmask_b32_e32 v6, v6, v11, vcc
	v_add_u32_e32 v11, 1, v6
	v_cmp_le_u32_e32 vcc, s14, v7
	v_cndmask_b32_e32 v6, v6, v11, vcc
	v_mov_b32_e32 v7, 0
.LBB2_13:
	s_or_b64 exec, exec, s[0:1]
	s_load_dwordx16 s[36:51], s[4:5], 0x40
	v_mov_b32_e32 v11, 0
                                        ; implicit-def: $vgpr32_vgpr33
	s_waitcnt lgkmcnt(0)
	s_mul_i32 s0, s42, s41
	s_mul_hi_u32 s1, s42, s40
	s_mul_i32 s2, s43, s40
	s_mul_i32 s16, s42, s40
	s_add_i32 s17, s1, s0
	s_mul_i32 s0, s16, s45
	s_add_i32 s17, s17, s2
	s_mul_hi_u32 s1, s16, s44
	s_add_i32 s0, s1, s0
	s_mul_i32 s1, s17, s44
	s_add_i32 s18, s0, s1
	v_or_b32_e32 v12, s18, v5
	v_cmp_ne_u64_e32 vcc, 0, v[11:12]
	s_mul_i32 s19, s16, s44
	s_and_saveexec_b64 s[0:1], vcc
	s_xor_b64 s[2:3], exec, s[0:1]
	s_cbranch_execz .LBB2_15
; %bb.14:
	s_ashr_i32 s6, s18, 31
	s_add_u32 s0, s19, s6
	s_mov_b32 s7, s6
	s_addc_u32 s1, s18, s6
	s_xor_b64 s[12:13], s[0:1], s[6:7]
	v_cvt_f32_u32_e32 v11, s12
	v_cvt_f32_u32_e32 v12, s13
	s_sub_u32 s7, 0, s12
	s_subb_u32 s24, 0, s13
	v_madmk_f32 v11, v12, 0x4f800000, v11
	v_rcp_f32_e32 v11, v11
	v_mul_f32_e32 v11, 0x5f7ffffc, v11
	v_mul_f32_e32 v12, 0x2f800000, v11
	v_trunc_f32_e32 v12, v12
	v_madmk_f32 v11, v12, 0xcf800000, v11
	v_cvt_u32_f32_e32 v12, v12
	v_cvt_u32_f32_e32 v11, v11
	v_readfirstlane_b32 s25, v12
	v_readfirstlane_b32 s0, v11
	s_mul_i32 s1, s7, s25
	s_mul_hi_u32 s27, s7, s0
	s_mul_i32 s26, s24, s0
	s_add_i32 s1, s27, s1
	s_add_i32 s1, s1, s26
	s_mul_i32 s28, s7, s0
	s_mul_i32 s27, s0, s1
	s_mul_hi_u32 s29, s0, s28
	s_mul_hi_u32 s26, s0, s1
	s_add_u32 s27, s29, s27
	s_addc_u32 s26, 0, s26
	s_mul_hi_u32 s30, s25, s28
	s_mul_i32 s28, s25, s28
	s_add_u32 s27, s27, s28
	s_mul_hi_u32 s29, s25, s1
	s_addc_u32 s26, s26, s30
	s_addc_u32 s27, s29, 0
	s_mul_i32 s1, s25, s1
	s_add_u32 s1, s26, s1
	s_addc_u32 s26, 0, s27
	s_add_u32 s27, s0, s1
	s_cselect_b64 s[0:1], -1, 0
	s_cmp_lg_u64 s[0:1], 0
	s_addc_u32 s25, s25, s26
	s_mul_i32 s0, s7, s25
	s_mul_hi_u32 s1, s7, s27
	s_add_i32 s0, s1, s0
	s_mul_i32 s24, s24, s27
	s_add_i32 s0, s0, s24
	s_mul_i32 s7, s7, s27
	s_mul_hi_u32 s24, s25, s7
	s_mul_i32 s26, s25, s7
	s_mul_i32 s29, s27, s0
	s_mul_hi_u32 s7, s27, s7
	s_mul_hi_u32 s28, s27, s0
	s_add_u32 s7, s7, s29
	s_addc_u32 s28, 0, s28
	s_add_u32 s7, s7, s26
	s_mul_hi_u32 s1, s25, s0
	s_addc_u32 s7, s28, s24
	s_addc_u32 s1, s1, 0
	s_mul_i32 s0, s25, s0
	s_add_u32 s0, s7, s0
	s_addc_u32 s7, 0, s1
	s_add_u32 s24, s27, s0
	s_cselect_b64 s[0:1], -1, 0
	s_cmp_lg_u64 s[0:1], 0
	v_add_co_u32_e32 v11, vcc, v4, v10
	s_addc_u32 s7, s25, s7
	v_xor_b32_e32 v15, v11, v10
	v_mad_u64_u32 v[11:12], s[0:1], v15, s7, 0
	v_mul_hi_u32 v14, v15, s24
	v_addc_co_u32_e32 v13, vcc, v5, v10, vcc
	v_xor_b32_e32 v16, v13, v10
	v_add_co_u32_e32 v17, vcc, v14, v11
	v_addc_co_u32_e32 v18, vcc, 0, v12, vcc
	v_mad_u64_u32 v[11:12], s[0:1], v16, s24, 0
	v_mad_u64_u32 v[13:14], s[0:1], v16, s7, 0
	v_add_co_u32_e32 v11, vcc, v17, v11
	v_addc_co_u32_e32 v11, vcc, v18, v12, vcc
	v_addc_co_u32_e32 v12, vcc, 0, v14, vcc
	v_add_co_u32_e32 v13, vcc, v11, v13
	v_addc_co_u32_e32 v14, vcc, 0, v12, vcc
	v_mul_lo_u32 v17, s13, v13
	v_mul_lo_u32 v18, s12, v14
	v_mad_u64_u32 v[11:12], s[0:1], s12, v13, 0
	v_xor_b32_e32 v10, s6, v10
	v_add3_u32 v12, v12, v18, v17
	v_sub_u32_e32 v17, v16, v12
	v_mov_b32_e32 v18, s13
	v_sub_co_u32_e32 v11, vcc, v15, v11
	v_subb_co_u32_e64 v15, s[0:1], v17, v18, vcc
	v_subrev_co_u32_e64 v17, s[0:1], s12, v11
	v_subbrev_co_u32_e64 v15, s[0:1], 0, v15, s[0:1]
	v_cmp_le_u32_e64 s[0:1], s13, v15
	v_cndmask_b32_e64 v18, 0, -1, s[0:1]
	v_cmp_le_u32_e64 s[0:1], s12, v17
	v_cndmask_b32_e64 v17, 0, -1, s[0:1]
	v_cmp_eq_u32_e64 s[0:1], s13, v15
	v_cndmask_b32_e64 v15, v18, v17, s[0:1]
	v_add_co_u32_e64 v17, s[0:1], 2, v13
	v_subb_co_u32_e32 v12, vcc, v16, v12, vcc
	v_addc_co_u32_e64 v18, s[0:1], 0, v14, s[0:1]
	v_cmp_le_u32_e32 vcc, s13, v12
	v_add_co_u32_e64 v19, s[0:1], 1, v13
	v_cndmask_b32_e64 v16, 0, -1, vcc
	v_cmp_le_u32_e32 vcc, s12, v11
	v_addc_co_u32_e64 v20, s[0:1], 0, v14, s[0:1]
	v_cndmask_b32_e64 v11, 0, -1, vcc
	v_cmp_eq_u32_e32 vcc, s13, v12
	v_cmp_ne_u32_e64 s[0:1], 0, v15
	v_cndmask_b32_e32 v11, v16, v11, vcc
	v_cmp_ne_u32_e32 vcc, 0, v11
	v_cndmask_b32_e64 v12, v19, v17, s[0:1]
	v_cndmask_b32_e64 v15, v20, v18, s[0:1]
	v_cndmask_b32_e32 v12, v13, v12, vcc
	v_cndmask_b32_e32 v11, v14, v15, vcc
	v_xor_b32_e32 v12, v12, v10
	v_xor_b32_e32 v11, v11, v10
	v_sub_co_u32_e32 v32, vcc, v12, v10
	v_subb_co_u32_e32 v33, vcc, v11, v10, vcc
.LBB2_15:
	s_andn2_saveexec_b64 s[0:1], s[2:3]
	s_cbranch_execz .LBB2_17
; %bb.16:
	v_cvt_f32_u32_e32 v10, s19
	s_sub_i32 s2, 0, s19
	v_mov_b32_e32 v33, 0
	v_rcp_iflag_f32_e32 v10, v10
	v_mul_f32_e32 v10, 0x4f7ffffe, v10
	v_cvt_u32_f32_e32 v10, v10
	v_mul_lo_u32 v11, s2, v10
	v_mul_hi_u32 v11, v10, v11
	v_add_u32_e32 v10, v10, v11
	v_mul_hi_u32 v10, v4, v10
	v_mul_lo_u32 v11, v10, s19
	v_add_u32_e32 v12, 1, v10
	v_sub_u32_e32 v11, v4, v11
	v_subrev_u32_e32 v13, s19, v11
	v_cmp_le_u32_e32 vcc, s19, v11
	v_cndmask_b32_e32 v11, v11, v13, vcc
	v_cndmask_b32_e32 v10, v10, v12, vcc
	v_add_u32_e32 v12, 1, v10
	v_cmp_le_u32_e32 vcc, s19, v11
	v_cndmask_b32_e32 v32, v10, v12, vcc
.LBB2_17:
	s_or_b64 exec, exec, s[0:1]
	v_mul_lo_u32 v12, s18, v32
	v_mul_lo_u32 v13, s19, v33
	v_mad_u64_u32 v[10:11], s[0:1], s19, v32, 0
                                        ; implicit-def: $vgpr34_vgpr35
	v_add3_u32 v11, v11, v13, v12
	v_sub_co_u32_e32 v4, vcc, v4, v10
	v_subb_co_u32_e32 v5, vcc, v5, v11, vcc
	v_or_b32_e32 v11, s17, v5
	v_mov_b32_e32 v10, 0
	v_cmp_ne_u64_e32 vcc, 0, v[10:11]
	s_and_saveexec_b64 s[0:1], vcc
	s_xor_b64 s[2:3], exec, s[0:1]
	s_cbranch_execz .LBB2_19
; %bb.18:
	s_ashr_i32 s6, s17, 31
	s_add_u32 s0, s16, s6
	s_mov_b32 s7, s6
	s_addc_u32 s1, s17, s6
	s_xor_b64 s[12:13], s[0:1], s[6:7]
	v_cvt_f32_u32_e32 v10, s12
	v_cvt_f32_u32_e32 v11, s13
	s_sub_u32 s7, 0, s12
	s_subb_u32 s18, 0, s13
	v_ashrrev_i32_e32 v14, 31, v5
	v_madmk_f32 v10, v11, 0x4f800000, v10
	v_rcp_f32_e32 v10, v10
	v_mul_f32_e32 v10, 0x5f7ffffc, v10
	v_mul_f32_e32 v11, 0x2f800000, v10
	v_trunc_f32_e32 v11, v11
	v_madmk_f32 v10, v11, 0xcf800000, v10
	v_cvt_u32_f32_e32 v11, v11
	v_cvt_u32_f32_e32 v10, v10
	v_readfirstlane_b32 s19, v11
	v_readfirstlane_b32 s0, v10
	s_mul_i32 s1, s7, s19
	s_mul_hi_u32 s25, s7, s0
	s_mul_i32 s24, s18, s0
	s_add_i32 s1, s25, s1
	s_add_i32 s1, s1, s24
	s_mul_i32 s26, s7, s0
	s_mul_i32 s25, s0, s1
	s_mul_hi_u32 s27, s0, s26
	s_mul_hi_u32 s24, s0, s1
	s_add_u32 s25, s27, s25
	s_addc_u32 s24, 0, s24
	s_mul_hi_u32 s28, s19, s26
	s_mul_i32 s26, s19, s26
	s_add_u32 s25, s25, s26
	s_mul_hi_u32 s27, s19, s1
	s_addc_u32 s24, s24, s28
	s_addc_u32 s25, s27, 0
	s_mul_i32 s1, s19, s1
	s_add_u32 s1, s24, s1
	s_addc_u32 s24, 0, s25
	s_add_u32 s25, s0, s1
	s_cselect_b64 s[0:1], -1, 0
	s_cmp_lg_u64 s[0:1], 0
	s_addc_u32 s19, s19, s24
	s_mul_i32 s0, s7, s19
	s_mul_hi_u32 s1, s7, s25
	s_add_i32 s0, s1, s0
	s_mul_i32 s18, s18, s25
	s_add_i32 s0, s0, s18
	s_mul_i32 s7, s7, s25
	s_mul_hi_u32 s18, s19, s7
	s_mul_i32 s24, s19, s7
	s_mul_i32 s27, s25, s0
	s_mul_hi_u32 s7, s25, s7
	s_mul_hi_u32 s26, s25, s0
	s_add_u32 s7, s7, s27
	s_addc_u32 s26, 0, s26
	s_add_u32 s7, s7, s24
	s_mul_hi_u32 s1, s19, s0
	s_addc_u32 s7, s26, s18
	s_addc_u32 s1, s1, 0
	s_mul_i32 s0, s19, s0
	s_add_u32 s0, s7, s0
	s_addc_u32 s7, 0, s1
	s_add_u32 s18, s25, s0
	s_cselect_b64 s[0:1], -1, 0
	s_cmp_lg_u64 s[0:1], 0
	v_add_co_u32_e32 v10, vcc, v4, v14
	s_addc_u32 s7, s19, s7
	v_xor_b32_e32 v15, v10, v14
	v_mad_u64_u32 v[10:11], s[0:1], v15, s7, 0
	v_mul_hi_u32 v13, v15, s18
	v_addc_co_u32_e32 v12, vcc, v5, v14, vcc
	v_xor_b32_e32 v16, v12, v14
	v_add_co_u32_e32 v17, vcc, v13, v10
	v_addc_co_u32_e32 v18, vcc, 0, v11, vcc
	v_mad_u64_u32 v[10:11], s[0:1], v16, s18, 0
	v_mad_u64_u32 v[12:13], s[0:1], v16, s7, 0
	v_add_co_u32_e32 v10, vcc, v17, v10
	v_addc_co_u32_e32 v10, vcc, v18, v11, vcc
	v_addc_co_u32_e32 v11, vcc, 0, v13, vcc
	v_add_co_u32_e32 v12, vcc, v10, v12
	v_addc_co_u32_e32 v13, vcc, 0, v11, vcc
	v_mul_lo_u32 v17, s13, v12
	v_mul_lo_u32 v18, s12, v13
	v_mad_u64_u32 v[10:11], s[0:1], s12, v12, 0
	v_add3_u32 v11, v11, v18, v17
	v_sub_u32_e32 v17, v16, v11
	v_mov_b32_e32 v18, s13
	v_sub_co_u32_e32 v10, vcc, v15, v10
	v_subb_co_u32_e64 v15, s[0:1], v17, v18, vcc
	v_subrev_co_u32_e64 v17, s[0:1], s12, v10
	v_subbrev_co_u32_e64 v15, s[0:1], 0, v15, s[0:1]
	v_cmp_le_u32_e64 s[0:1], s13, v15
	v_cndmask_b32_e64 v18, 0, -1, s[0:1]
	v_cmp_le_u32_e64 s[0:1], s12, v17
	v_cndmask_b32_e64 v17, 0, -1, s[0:1]
	v_cmp_eq_u32_e64 s[0:1], s13, v15
	v_cndmask_b32_e64 v15, v18, v17, s[0:1]
	v_add_co_u32_e64 v17, s[0:1], 2, v12
	v_subb_co_u32_e32 v11, vcc, v16, v11, vcc
	v_addc_co_u32_e64 v18, s[0:1], 0, v13, s[0:1]
	v_cmp_le_u32_e32 vcc, s13, v11
	v_add_co_u32_e64 v19, s[0:1], 1, v12
	v_cndmask_b32_e64 v16, 0, -1, vcc
	v_cmp_le_u32_e32 vcc, s12, v10
	v_addc_co_u32_e64 v20, s[0:1], 0, v13, s[0:1]
	v_cndmask_b32_e64 v10, 0, -1, vcc
	v_cmp_eq_u32_e32 vcc, s13, v11
	v_cmp_ne_u32_e64 s[0:1], 0, v15
	v_cndmask_b32_e32 v10, v16, v10, vcc
	v_cmp_ne_u32_e32 vcc, 0, v10
	v_cndmask_b32_e64 v11, v19, v17, s[0:1]
	v_cndmask_b32_e64 v15, v20, v18, s[0:1]
	v_cndmask_b32_e32 v11, v12, v11, vcc
	v_xor_b32_e32 v12, s6, v14
	v_cndmask_b32_e32 v10, v13, v15, vcc
	v_xor_b32_e32 v11, v11, v12
	v_xor_b32_e32 v10, v10, v12
	v_sub_co_u32_e32 v34, vcc, v11, v12
	v_subb_co_u32_e32 v35, vcc, v10, v12, vcc
.LBB2_19:
	s_andn2_saveexec_b64 s[0:1], s[2:3]
	s_cbranch_execz .LBB2_21
; %bb.20:
	v_cvt_f32_u32_e32 v10, s16
	s_sub_i32 s2, 0, s16
	v_mov_b32_e32 v35, 0
	v_rcp_iflag_f32_e32 v10, v10
	v_mul_f32_e32 v10, 0x4f7ffffe, v10
	v_cvt_u32_f32_e32 v10, v10
	v_mul_lo_u32 v11, s2, v10
	v_mul_hi_u32 v11, v10, v11
	v_add_u32_e32 v10, v10, v11
	v_mul_hi_u32 v10, v4, v10
	v_mul_lo_u32 v11, v10, s16
	v_add_u32_e32 v12, 1, v10
	v_sub_u32_e32 v11, v4, v11
	v_subrev_u32_e32 v13, s16, v11
	v_cmp_le_u32_e32 vcc, s16, v11
	v_cndmask_b32_e32 v11, v11, v13, vcc
	v_cndmask_b32_e32 v10, v10, v12, vcc
	v_add_u32_e32 v12, 1, v10
	v_cmp_le_u32_e32 vcc, s16, v11
	v_cndmask_b32_e32 v34, v10, v12, vcc
.LBB2_21:
	s_or_b64 exec, exec, s[0:1]
	v_mul_lo_u32 v12, s17, v34
	v_mul_lo_u32 v13, s16, v35
	v_mad_u64_u32 v[10:11], s[0:1], s16, v34, 0
                                        ; implicit-def: $vgpr36_vgpr37
	v_add3_u32 v11, v11, v13, v12
	v_sub_co_u32_e32 v38, vcc, v4, v10
	v_subb_co_u32_e32 v39, vcc, v5, v11, vcc
	v_or_b32_e32 v5, s41, v39
	v_mov_b32_e32 v4, 0
	v_cmp_ne_u64_e32 vcc, 0, v[4:5]
	s_and_saveexec_b64 s[0:1], vcc
	s_xor_b64 s[2:3], exec, s[0:1]
	s_cbranch_execz .LBB2_23
; %bb.22:
	s_ashr_i32 s6, s41, 31
	s_add_u32 s0, s40, s6
	s_mov_b32 s7, s6
	s_addc_u32 s1, s41, s6
	s_xor_b64 s[12:13], s[0:1], s[6:7]
	v_cvt_f32_u32_e32 v4, s12
	v_cvt_f32_u32_e32 v5, s13
	s_sub_u32 s7, 0, s12
	s_subb_u32 s16, 0, s13
	v_ashrrev_i32_e32 v12, 31, v39
	v_madmk_f32 v4, v5, 0x4f800000, v4
	v_rcp_f32_e32 v4, v4
	v_mul_f32_e32 v4, 0x5f7ffffc, v4
	v_mul_f32_e32 v5, 0x2f800000, v4
	v_trunc_f32_e32 v5, v5
	v_madmk_f32 v4, v5, 0xcf800000, v4
	v_cvt_u32_f32_e32 v5, v5
	v_cvt_u32_f32_e32 v4, v4
	v_readfirstlane_b32 s17, v5
	v_readfirstlane_b32 s0, v4
	s_mul_i32 s1, s7, s17
	s_mul_hi_u32 s19, s7, s0
	s_mul_i32 s18, s16, s0
	s_add_i32 s1, s19, s1
	s_add_i32 s1, s1, s18
	s_mul_i32 s24, s7, s0
	s_mul_i32 s19, s0, s1
	s_mul_hi_u32 s25, s0, s24
	s_mul_hi_u32 s18, s0, s1
	s_add_u32 s19, s25, s19
	s_addc_u32 s18, 0, s18
	s_mul_hi_u32 s26, s17, s24
	s_mul_i32 s24, s17, s24
	s_add_u32 s19, s19, s24
	s_mul_hi_u32 s25, s17, s1
	s_addc_u32 s18, s18, s26
	s_addc_u32 s19, s25, 0
	s_mul_i32 s1, s17, s1
	s_add_u32 s1, s18, s1
	s_addc_u32 s18, 0, s19
	s_add_u32 s19, s0, s1
	s_cselect_b64 s[0:1], -1, 0
	s_cmp_lg_u64 s[0:1], 0
	s_addc_u32 s17, s17, s18
	s_mul_i32 s0, s7, s17
	s_mul_hi_u32 s1, s7, s19
	s_add_i32 s0, s1, s0
	s_mul_i32 s16, s16, s19
	s_add_i32 s0, s0, s16
	s_mul_i32 s7, s7, s19
	s_mul_hi_u32 s16, s17, s7
	s_mul_i32 s18, s17, s7
	s_mul_i32 s25, s19, s0
	s_mul_hi_u32 s7, s19, s7
	s_mul_hi_u32 s24, s19, s0
	s_add_u32 s7, s7, s25
	s_addc_u32 s24, 0, s24
	s_add_u32 s7, s7, s18
	s_mul_hi_u32 s1, s17, s0
	s_addc_u32 s7, s24, s16
	s_addc_u32 s1, s1, 0
	s_mul_i32 s0, s17, s0
	s_add_u32 s0, s7, s0
	s_addc_u32 s7, 0, s1
	s_add_u32 s16, s19, s0
	s_cselect_b64 s[0:1], -1, 0
	s_cmp_lg_u64 s[0:1], 0
	v_add_co_u32_e32 v4, vcc, v38, v12
	s_addc_u32 s7, s17, s7
	v_xor_b32_e32 v13, v4, v12
	v_mad_u64_u32 v[4:5], s[0:1], v13, s7, 0
	v_mul_hi_u32 v11, v13, s16
	v_addc_co_u32_e32 v10, vcc, v39, v12, vcc
	v_xor_b32_e32 v14, v10, v12
	v_add_co_u32_e32 v15, vcc, v11, v4
	v_addc_co_u32_e32 v16, vcc, 0, v5, vcc
	v_mad_u64_u32 v[4:5], s[0:1], v14, s16, 0
	v_mad_u64_u32 v[10:11], s[0:1], v14, s7, 0
	v_add_co_u32_e32 v4, vcc, v15, v4
	v_addc_co_u32_e32 v4, vcc, v16, v5, vcc
	v_addc_co_u32_e32 v5, vcc, 0, v11, vcc
	v_add_co_u32_e32 v10, vcc, v4, v10
	v_addc_co_u32_e32 v11, vcc, 0, v5, vcc
	v_mul_lo_u32 v15, s13, v10
	v_mul_lo_u32 v16, s12, v11
	v_mad_u64_u32 v[4:5], s[0:1], s12, v10, 0
	v_add3_u32 v5, v5, v16, v15
	v_sub_u32_e32 v15, v14, v5
	v_mov_b32_e32 v16, s13
	v_sub_co_u32_e32 v4, vcc, v13, v4
	v_subb_co_u32_e64 v13, s[0:1], v15, v16, vcc
	v_subrev_co_u32_e64 v15, s[0:1], s12, v4
	v_subbrev_co_u32_e64 v13, s[0:1], 0, v13, s[0:1]
	v_cmp_le_u32_e64 s[0:1], s13, v13
	v_cndmask_b32_e64 v16, 0, -1, s[0:1]
	v_cmp_le_u32_e64 s[0:1], s12, v15
	v_cndmask_b32_e64 v15, 0, -1, s[0:1]
	v_cmp_eq_u32_e64 s[0:1], s13, v13
	v_cndmask_b32_e64 v13, v16, v15, s[0:1]
	v_add_co_u32_e64 v15, s[0:1], 2, v10
	v_subb_co_u32_e32 v5, vcc, v14, v5, vcc
	v_addc_co_u32_e64 v16, s[0:1], 0, v11, s[0:1]
	v_cmp_le_u32_e32 vcc, s13, v5
	v_add_co_u32_e64 v17, s[0:1], 1, v10
	v_cndmask_b32_e64 v14, 0, -1, vcc
	v_cmp_le_u32_e32 vcc, s12, v4
	v_addc_co_u32_e64 v18, s[0:1], 0, v11, s[0:1]
	v_cndmask_b32_e64 v4, 0, -1, vcc
	v_cmp_eq_u32_e32 vcc, s13, v5
	v_cmp_ne_u32_e64 s[0:1], 0, v13
	v_cndmask_b32_e32 v4, v14, v4, vcc
	v_cmp_ne_u32_e32 vcc, 0, v4
	v_cndmask_b32_e64 v5, v17, v15, s[0:1]
	v_cndmask_b32_e64 v13, v18, v16, s[0:1]
	v_cndmask_b32_e32 v5, v10, v5, vcc
	v_xor_b32_e32 v10, s6, v12
	v_cndmask_b32_e32 v4, v11, v13, vcc
	v_xor_b32_e32 v5, v5, v10
	v_xor_b32_e32 v4, v4, v10
	v_sub_co_u32_e32 v36, vcc, v5, v10
	v_subb_co_u32_e32 v37, vcc, v4, v10, vcc
.LBB2_23:
	s_andn2_saveexec_b64 s[0:1], s[2:3]
	s_cbranch_execz .LBB2_25
; %bb.24:
	v_cvt_f32_u32_e32 v4, s40
	s_sub_i32 s2, 0, s40
	v_mov_b32_e32 v37, 0
	v_rcp_iflag_f32_e32 v4, v4
	v_mul_f32_e32 v4, 0x4f7ffffe, v4
	v_cvt_u32_f32_e32 v4, v4
	v_mul_lo_u32 v5, s2, v4
	v_mul_hi_u32 v5, v4, v5
	v_add_u32_e32 v4, v4, v5
	v_mul_hi_u32 v4, v38, v4
	v_mul_lo_u32 v5, v4, s40
	v_add_u32_e32 v10, 1, v4
	v_sub_u32_e32 v5, v38, v5
	v_subrev_u32_e32 v11, s40, v5
	v_cmp_le_u32_e32 vcc, s40, v5
	v_cndmask_b32_e32 v5, v5, v11, vcc
	v_cndmask_b32_e32 v4, v4, v10, vcc
	v_add_u32_e32 v10, 1, v4
	v_cmp_le_u32_e32 vcc, s40, v5
	v_cndmask_b32_e32 v36, v4, v10, vcc
.LBB2_25:
	s_or_b64 exec, exec, s[0:1]
	v_mul_lo_u32 v10, v7, s14
	v_mul_lo_u32 v11, v6, s15
	v_mad_u64_u32 v[4:5], s[0:1], v6, s14, 0
	v_mul_lo_u32 v7, v7, s22
	v_mul_lo_u32 v3, v3, s36
	v_add3_u32 v5, v5, v11, v10
	v_sub_co_u32_e32 v8, vcc, v8, v4
	v_subb_co_u32_e32 v9, vcc, v9, v5, vcc
	v_mov_b32_e32 v4, s8
	v_mov_b32_e32 v5, s9
	v_mul_lo_u32 v10, v8, s21
	v_mul_lo_u32 v9, v9, s20
	v_mad_u64_u32 v[4:5], s[0:1], v8, s20, v[4:5]
	v_mul_lo_u32 v1, v1, s38
	s_load_dwordx2 s[2:3], s[4:5], 0x80
	v_add3_u32 v5, v9, v5, v10
	v_mad_u64_u32 v[4:5], s[0:1], v6, s22, v[4:5]
	v_mul_lo_u32 v6, v6, s23
	v_add3_u32 v5, v7, v5, v6
	v_mad_u64_u32 v[4:5], s[0:1], v2, s36, v[4:5]
	v_mul_lo_u32 v2, v2, s37
	;; [unrolled: 3-line block ×3, first 2 shown]
	v_add3_u32 v9, v1, v9, v0
	global_load_dwordx4 v[16:19], v[8:9], off
	global_load_dwordx4 v[12:15], v[8:9], off offset:16
	global_load_dwordx4 v[4:7], v[8:9], off offset:32
	;; [unrolled: 1-line block ×6, first 2 shown]
	s_nop 0
	global_load_dwordx4 v[8:11], v[8:9], off offset:112
	s_waitcnt vmcnt(7)
	v_cmp_lg_f32_e32 vcc, 0, v16
	v_cndmask_b32_e64 v40, 0, |v16|, vcc
	v_cmp_lt_f32_e64 s[0:1], v40, |v17|
	v_cndmask_b32_e64 v40, v40, |v17|, s[0:1]
	v_cndmask_b32_e32 v41, 0, v16, vcc
	v_cmp_lt_f32_e64 vcc, v40, |v18|
	v_cndmask_b32_e64 v40, v40, |v18|, vcc
	v_cndmask_b32_e64 v41, v41, v17, s[0:1]
	v_cmp_lt_f32_e64 s[0:1], v40, |v19|
	v_cndmask_b32_e64 v40, v40, |v19|, s[0:1]
	v_cndmask_b32_e32 v41, v41, v18, vcc
	s_waitcnt vmcnt(6)
	v_cmp_lt_f32_e64 vcc, v40, |v12|
	v_cndmask_b32_e64 v40, v40, |v12|, vcc
	v_cndmask_b32_e64 v41, v41, v19, s[0:1]
	v_cmp_lt_f32_e64 s[0:1], v40, |v13|
	v_cndmask_b32_e64 v40, v40, |v13|, s[0:1]
	v_cndmask_b32_e32 v41, v41, v12, vcc
	v_cmp_lt_f32_e64 vcc, v40, |v14|
	v_cndmask_b32_e64 v40, v40, |v14|, vcc
	v_cndmask_b32_e64 v41, v41, v13, s[0:1]
	v_cmp_lt_f32_e64 s[0:1], v40, |v15|
	v_cndmask_b32_e64 v40, v40, |v15|, s[0:1]
	v_cndmask_b32_e32 v41, v41, v14, vcc
	s_waitcnt vmcnt(5)
	v_cmp_lt_f32_e64 vcc, v40, |v4|
	v_cndmask_b32_e64 v40, v40, |v4|, vcc
	v_cndmask_b32_e64 v41, v41, v15, s[0:1]
	;; [unrolled: 13-line block ×7, first 2 shown]
	v_cmp_lt_f32_e64 s[0:1], v40, |v9|
	v_cndmask_b32_e64 v40, v40, |v9|, s[0:1]
	v_cndmask_b32_e32 v41, v41, v8, vcc
	v_cmp_lt_f32_e64 vcc, v40, |v10|
	v_cndmask_b32_e64 v40, v40, |v10|, vcc
	v_cndmask_b32_e64 v41, v41, v9, s[0:1]
	v_cndmask_b32_e32 v41, v41, v10, vcc
	v_cmp_lt_f32_e64 vcc, v40, |v11|
	v_cndmask_b32_e32 v41, v41, v11, vcc
	v_mul_f32_e32 v42, 0xbe000000, v41
	v_div_scale_f32 v40, s[0:1], v42, v42, 1.0
	v_rcp_f32_e32 v43, v40
	v_fma_f32 v44, -v40, v43, 1.0
	v_fmac_f32_e32 v43, v44, v43
	v_div_scale_f32 v44, vcc, 1.0, v42, 1.0
	v_mul_f32_e32 v45, v44, v43
	v_fma_f32 v46, -v40, v45, v44
	v_fmac_f32_e32 v45, v46, v43
	v_fma_f32 v40, -v40, v45, v44
	v_div_fmas_f32 v43, v40, v43, v45
	v_cmp_neq_f32_e32 vcc, 0, v42
	v_mov_b32_e32 v40, 0x41080000
	v_div_fixup_f32 v43, v43, v42, 1.0
	v_cndmask_b32_e32 v42, 0, v43, vcc
	v_fma_f32 v46, v16, v42, v40
	v_fma_f32 v44, v18, v42, v40
	;; [unrolled: 1-line block ×20, first 2 shown]
	v_mul_lo_u32 v22, v37, s40
	v_mul_lo_u32 v23, v36, s41
	v_mad_u64_u32 v[20:21], s[0:1], v36, s40, 0
	v_fma_f32 v43, v17, v42, v40
	v_fma_f32 v17, v13, v42, v40
	v_add3_u32 v21, v21, v23, v22
	v_sub_co_u32_e32 v20, vcc, v38, v20
	v_subb_co_u32_e32 v21, vcc, v39, v21, vcc
	v_ashrrev_i32_e32 v22, 31, v21
	v_lshrrev_b32_e32 v22, 27, v22
	v_add_co_u32_e32 v20, vcc, v20, v22
	v_addc_co_u32_e32 v21, vcc, 0, v21, vcc
	v_ashrrev_i64 v[20:21], 5, v[20:21]
	v_mov_b32_e32 v22, s10
	v_mov_b32_e32 v23, s11
	v_mad_u64_u32 v[22:23], s[0:1], v20, s46, v[22:23]
	v_mul_lo_u32 v20, v20, s47
	v_mul_lo_u32 v21, v21, s46
	v_fma_f32 v13, v27, v42, v40
	v_fma_f32 v27, v0, v42, v40
	;; [unrolled: 1-line block ×3, first 2 shown]
	v_add3_u32 v23, v21, v23, v20
	v_mad_u64_u32 v[21:22], s[0:1], v36, s48, v[22:23]
	v_mul_lo_u32 v20, v36, s49
	v_mul_lo_u32 v23, v37, s48
	v_cvt_i32_f32_e32 v30, v30
	v_cvt_i32_f32_e32 v16, v16
	;; [unrolled: 1-line block ×3, first 2 shown]
	v_add3_u32 v22, v23, v22, v20
	v_fma_f32 v20, v1, v42, v40
	v_mad_u64_u32 v[0:1], s[0:1], v34, s50, v[21:22]
	v_mul_lo_u32 v22, v34, s51
	v_mul_lo_u32 v23, v35, s50
	v_fma_f32 v21, v2, v42, v40
	v_fma_f32 v2, v3, v42, v40
	v_cvt_i32_f32_e32 v3, v46
	v_add3_u32 v1, v23, v1, v22
	s_waitcnt lgkmcnt(0)
	v_mad_u64_u32 v[0:1], s[0:1], v32, s2, v[0:1]
	v_mul_lo_u32 v32, v32, s3
	v_cvt_f64_i32_e32 v[22:23], v3
	v_mul_lo_u32 v3, v33, s2
	v_fma_f32 v34, v8, v42, v40
	v_cvt_i32_f32_e32 v8, v47
	s_mov_b32 s0, 0
	v_add3_u32 v1, v3, v1, v32
	v_cvt_i32_f32_e32 v3, v43
	v_cvt_f64_i32_e32 v[35:36], v8
	s_mov_b32 s1, 0x402e0000
	v_min_f64 v[37:38], v[22:23], s[0:1]
	v_fma_f32 v22, v9, v42, v40
	v_cvt_f64_i32_e32 v[8:9], v3
	v_cvt_i32_f32_e32 v3, v44
	v_min_f64 v[35:36], v[35:36], s[0:1]
	v_fma_f32 v23, v10, v42, v40
	v_fmac_f32_e32 v40, v11, v42
	v_min_f64 v[8:9], v[8:9], s[0:1]
	v_cvt_f64_i32_e32 v[10:11], v3
	v_cvt_f64_i32_e32 v[32:33], v30
	v_cvt_i32_f64_e32 v37, v[37:38]
	v_cvt_i32_f32_e32 v3, v45
	v_min_f64 v[10:11], v[10:11], s[0:1]
	v_cvt_i32_f64_e32 v38, v[35:36]
	v_min_f64 v[32:33], v[32:33], s[0:1]
	v_cvt_i32_f64_e32 v8, v[8:9]
	v_cvt_i32_f32_e32 v9, v29
	s_mov_b32 s2, 0xbe000000
	v_cvt_i32_f32_e32 v29, v31
	v_fma_mixlo_f16 v35, v41, s2, 0
	global_store_short v[0:1], v35, off
	v_cvt_f64_i32_e32 v[35:36], v3
	v_lshlrev_b16_e32 v3, 4, v38
	v_or_b32_e32 v3, v3, v37
	v_cvt_i32_f64_e32 v37, v[10:11]
	v_cvt_f64_i32_e32 v[10:11], v9
	v_cvt_f64_i32_e32 v[29:30], v29
	v_cvt_i32_f64_e32 v33, v[32:33]
	v_min_f64 v[35:36], v[35:36], s[0:1]
	v_min_f64 v[31:32], v[10:11], s[0:1]
	v_cvt_i32_f32_e32 v11, v18
	v_min_f64 v[29:30], v[29:30], s[0:1]
	v_lshlrev_b16_e32 v10, 4, v33
	v_or_b32_e32 v10, v10, v37
	v_cvt_f64_i32_e32 v[37:38], v11
	v_cvt_i32_f32_e32 v11, v25
	v_cvt_i32_f32_e32 v25, v17
	v_cvt_i32_f64_e32 v9, v[35:36]
	v_cvt_f64_i32_e32 v[35:36], v16
	v_cvt_f64_i32_e32 v[16:17], v11
	v_cvt_i32_f64_e32 v18, v[31:32]
	v_cvt_i32_f64_e32 v33, v[29:30]
	v_min_f64 v[29:30], v[37:38], s[0:1]
	v_cvt_i32_f32_e32 v37, v24
	v_cvt_f64_i32_e32 v[24:25], v25
	v_cvt_f64_i32_e32 v[31:32], v28
	v_min_f64 v[41:42], v[16:17], s[0:1]
	v_lshlrev_b16_e32 v17, 4, v33
	v_min_f64 v[24:25], v[24:25], s[0:1]
	v_min_f64 v[31:32], v[31:32], s[0:1]
	v_cvt_i32_f64_e32 v16, v[29:30]
	v_or_b32_e32 v17, v17, v18
	v_cvt_i32_f32_e32 v29, v19
	v_cvt_i32_f32_e32 v30, v26
	v_cvt_i32_f64_e32 v28, v[41:42]
	v_cvt_i32_f32_e32 v12, v12
	v_cvt_i32_f64_e32 v18, v[24:25]
	v_cvt_i32_f64_e32 v25, v[31:32]
	v_lshlrev_b16_e32 v28, 4, v28
	v_min_f64 v[35:36], v[35:36], s[0:1]
	v_cvt_i32_f32_e32 v32, v14
	v_or_b32_e32 v19, v28, v25
	v_cvt_f64_i32_e32 v[25:26], v29
	v_cvt_f64_i32_e32 v[28:29], v30
	v_cvt_i32_f32_e32 v30, v13
	v_cvt_f64_i32_e32 v[12:13], v12
	v_min_f64 v[25:26], v[25:26], s[0:1]
	v_min_f64 v[28:29], v[28:29], s[0:1]
	v_cvt_f64_i32_e32 v[30:31], v30
	v_cvt_i32_f32_e32 v33, v15
	v_min_f64 v[12:13], v[12:13], s[0:1]
	v_cvt_i32_f64_e32 v11, v[35:36]
	v_min_f64 v[14:15], v[30:31], s[0:1]
	v_cvt_f64_i32_e32 v[30:31], v32
	v_cvt_f64_i32_e32 v[32:33], v33
	v_cvt_i32_f64_e32 v36, v[28:29]
	v_cvt_i32_f64_e32 v35, v[25:26]
	v_min_f64 v[25:26], v[30:31], s[0:1]
	v_cvt_i32_f32_e32 v7, v7
	v_cvt_i32_f64_e32 v12, v[12:13]
	v_cvt_i32_f64_e32 v13, v[14:15]
	v_lshlrev_b16_e32 v14, 4, v36
	v_min_f64 v[28:29], v[32:33], s[0:1]
	v_or_b32_e32 v33, v14, v35
	v_cvt_i32_f32_e32 v14, v6
	v_cvt_f64_i32_e32 v[6:7], v7
	v_cvt_f64_i32_e32 v[37:38], v37
	v_cvt_i32_f64_e32 v35, v[25:26]
	v_cvt_f64_i32_e32 v[14:15], v14
	v_cvt_i32_f32_e32 v25, v5
	v_min_f64 v[5:6], v[6:7], s[0:1]
	v_cvt_i32_f32_e32 v27, v27
	v_cvt_i32_f32_e32 v7, v34
	v_min_f64 v[37:38], v[37:38], s[0:1]
	v_min_f64 v[14:15], v[14:15], s[0:1]
	v_cvt_i32_f64_e32 v36, v[28:29]
	v_cvt_f64_i32_e32 v[27:28], v27
	v_cvt_i32_f32_e32 v4, v4
	v_cvt_f64_i32_e32 v[29:30], v7
	v_cvt_i32_f64_e32 v34, v[5:6]
	v_min_f64 v[27:28], v[27:28], s[0:1]
	v_cvt_f64_i32_e32 v[31:32], v4
	v_min_f64 v[4:5], v[29:30], s[0:1]
	v_cvt_f64_i32_e32 v[25:26], v25
	v_cvt_i32_f64_e32 v24, v[37:38]
	v_cvt_i32_f64_e32 v37, v[14:15]
	v_lshlrev_b16_e32 v14, 4, v34
	v_min_f64 v[6:7], v[31:32], s[0:1]
	v_or_b32_e32 v29, v14, v36
	v_cvt_i32_f32_e32 v14, v20
	v_min_f64 v[25:26], v[25:26], s[0:1]
	v_cvt_i32_f64_e32 v27, v[27:28]
	v_cvt_i32_f32_e32 v15, v21
	v_cvt_i32_f64_e32 v28, v[4:5]
	v_cvt_f64_i32_e32 v[4:5], v14
	v_cvt_i32_f32_e32 v14, v23
	v_cvt_i32_f32_e32 v20, v22
	v_cvt_i32_f64_e32 v31, v[6:7]
	v_cvt_f64_i32_e32 v[6:7], v15
	v_cvt_f64_i32_e32 v[14:15], v14
	v_cvt_i32_f64_e32 v30, v[25:26]
	v_cvt_i32_f32_e32 v2, v2
	v_cvt_i32_f32_e32 v25, v40
	v_cvt_f64_i32_e32 v[20:21], v20
	v_min_f64 v[14:15], v[14:15], s[0:1]
	v_min_f64 v[6:7], v[6:7], s[0:1]
	v_cvt_f64_i32_e32 v[22:23], v2
	v_cvt_f64_i32_e32 v[25:26], v25
	v_min_f64 v[4:5], v[4:5], s[0:1]
	v_min_f64 v[20:21], v[20:21], s[0:1]
	;; [unrolled: 1-line block ×4, first 2 shown]
	v_cvt_i32_f64_e32 v14, v[14:15]
	v_cvt_i32_f64_e32 v6, v[6:7]
	v_lshlrev_b16_e32 v2, 4, v28
	v_or_b32_e32 v2, v2, v27
	v_cvt_i32_f64_e32 v4, v[4:5]
	v_cvt_i32_f64_e32 v5, v[20:21]
	v_lshlrev_b16_e32 v7, 4, v14
	v_or_b32_e32 v6, v7, v6
	v_cvt_i32_f64_e32 v7, v[22:23]
	v_cvt_i32_f64_e32 v14, v[25:26]
	v_lshlrev_b16_e32 v4, 8, v4
	v_lshlrev_b16_e32 v5, 12, v5
	v_or_b32_e32 v4, v5, v4
	v_or_b32_sdwa v2, v2, v4 dst_sel:DWORD dst_unused:UNUSED_PAD src0_sel:BYTE_0 src1_sel:DWORD
	v_lshlrev_b16_e32 v4, 8, v7
	v_lshlrev_b16_e32 v5, 12, v14
	v_or_b32_e32 v4, v5, v4
	v_or_b32_sdwa v4, v6, v4 dst_sel:WORD_1 dst_unused:UNUSED_PAD src0_sel:BYTE_0 src1_sel:DWORD
	v_or_b32_sdwa v6, v2, v4 dst_sel:DWORD dst_unused:UNUSED_PAD src0_sel:WORD_0 src1_sel:DWORD
	v_lshlrev_b16_e32 v2, 8, v35
	v_lshlrev_b16_e32 v4, 12, v37
	v_or_b32_e32 v2, v4, v2
	v_lshlrev_b16_e32 v4, 8, v30
	v_lshlrev_b16_e32 v5, 12, v31
	v_or_b32_e32 v4, v5, v4
	v_or_b32_sdwa v2, v33, v2 dst_sel:DWORD dst_unused:UNUSED_PAD src0_sel:BYTE_0 src1_sel:DWORD
	v_or_b32_sdwa v4, v29, v4 dst_sel:WORD_1 dst_unused:UNUSED_PAD src0_sel:BYTE_0 src1_sel:DWORD
	v_or_b32_sdwa v5, v2, v4 dst_sel:DWORD dst_unused:UNUSED_PAD src0_sel:WORD_0 src1_sel:DWORD
	v_lshlrev_b16_e32 v2, 8, v18
	v_lshlrev_b16_e32 v4, 12, v24
	v_or_b32_e32 v2, v4, v2
	v_lshlrev_b16_e32 v4, 8, v12
	v_lshlrev_b16_e32 v7, 12, v13
	v_or_b32_e32 v4, v7, v4
	v_or_b32_sdwa v2, v17, v2 dst_sel:DWORD dst_unused:UNUSED_PAD src0_sel:BYTE_0 src1_sel:DWORD
	v_or_b32_sdwa v4, v19, v4 dst_sel:WORD_1 dst_unused:UNUSED_PAD src0_sel:BYTE_0 src1_sel:DWORD
	v_or_b32_sdwa v4, v2, v4 dst_sel:DWORD dst_unused:UNUSED_PAD src0_sel:WORD_0 src1_sel:DWORD
	v_lshlrev_b16_e32 v2, 8, v8
	v_lshlrev_b16_e32 v7, 12, v9
	v_or_b32_e32 v2, v7, v2
	v_or_b32_sdwa v2, v3, v2 dst_sel:DWORD dst_unused:UNUSED_PAD src0_sel:BYTE_0 src1_sel:DWORD
	v_lshlrev_b16_e32 v3, 8, v11
	v_lshlrev_b16_e32 v7, 12, v16
	v_or_b32_e32 v3, v7, v3
	v_or_b32_sdwa v3, v10, v3 dst_sel:WORD_1 dst_unused:UNUSED_PAD src0_sel:BYTE_0 src1_sel:DWORD
	v_or_b32_sdwa v3, v2, v3 dst_sel:DWORD dst_unused:UNUSED_PAD src0_sel:WORD_0 src1_sel:DWORD
	global_store_dwordx4 v[0:1], v[3:6], off offset:2
.LBB2_26:
	s_endpgm
	.section	.rodata,"a",@progbits
	.p2align	6, 0x0
	.amdhsa_kernel _ZL9cpy_f32_qIXadL_ZL17cpy_blck_f32_q4_0PKcPcEELi32EEvS1_S2_lllllllllllllll
		.amdhsa_group_segment_fixed_size 0
		.amdhsa_private_segment_fixed_size 0
		.amdhsa_kernarg_size 392
		.amdhsa_user_sgpr_count 6
		.amdhsa_user_sgpr_private_segment_buffer 1
		.amdhsa_user_sgpr_dispatch_ptr 0
		.amdhsa_user_sgpr_queue_ptr 0
		.amdhsa_user_sgpr_kernarg_segment_ptr 1
		.amdhsa_user_sgpr_dispatch_id 0
		.amdhsa_user_sgpr_flat_scratch_init 0
		.amdhsa_user_sgpr_private_segment_size 0
		.amdhsa_uses_dynamic_stack 0
		.amdhsa_system_sgpr_private_segment_wavefront_offset 0
		.amdhsa_system_sgpr_workgroup_id_x 1
		.amdhsa_system_sgpr_workgroup_id_y 0
		.amdhsa_system_sgpr_workgroup_id_z 0
		.amdhsa_system_sgpr_workgroup_info 0
		.amdhsa_system_vgpr_workitem_id 0
		.amdhsa_next_free_vgpr 48
		.amdhsa_next_free_sgpr 52
		.amdhsa_reserve_vcc 1
		.amdhsa_reserve_flat_scratch 0
		.amdhsa_float_round_mode_32 0
		.amdhsa_float_round_mode_16_64 0
		.amdhsa_float_denorm_mode_32 3
		.amdhsa_float_denorm_mode_16_64 3
		.amdhsa_dx10_clamp 1
		.amdhsa_ieee_mode 1
		.amdhsa_fp16_overflow 0
		.amdhsa_exception_fp_ieee_invalid_op 0
		.amdhsa_exception_fp_denorm_src 0
		.amdhsa_exception_fp_ieee_div_zero 0
		.amdhsa_exception_fp_ieee_overflow 0
		.amdhsa_exception_fp_ieee_underflow 0
		.amdhsa_exception_fp_ieee_inexact 0
		.amdhsa_exception_int_div_zero 0
	.end_amdhsa_kernel
	.section	.text._ZL9cpy_f32_qIXadL_ZL17cpy_blck_f32_q4_0PKcPcEELi32EEvS1_S2_lllllllllllllll,"axG",@progbits,_ZL9cpy_f32_qIXadL_ZL17cpy_blck_f32_q4_0PKcPcEELi32EEvS1_S2_lllllllllllllll,comdat
.Lfunc_end2:
	.size	_ZL9cpy_f32_qIXadL_ZL17cpy_blck_f32_q4_0PKcPcEELi32EEvS1_S2_lllllllllllllll, .Lfunc_end2-_ZL9cpy_f32_qIXadL_ZL17cpy_blck_f32_q4_0PKcPcEELi32EEvS1_S2_lllllllllllllll
                                        ; -- End function
	.set _ZL9cpy_f32_qIXadL_ZL17cpy_blck_f32_q4_0PKcPcEELi32EEvS1_S2_lllllllllllllll.num_vgpr, 48
	.set _ZL9cpy_f32_qIXadL_ZL17cpy_blck_f32_q4_0PKcPcEELi32EEvS1_S2_lllllllllllllll.num_agpr, 0
	.set _ZL9cpy_f32_qIXadL_ZL17cpy_blck_f32_q4_0PKcPcEELi32EEvS1_S2_lllllllllllllll.numbered_sgpr, 52
	.set _ZL9cpy_f32_qIXadL_ZL17cpy_blck_f32_q4_0PKcPcEELi32EEvS1_S2_lllllllllllllll.num_named_barrier, 0
	.set _ZL9cpy_f32_qIXadL_ZL17cpy_blck_f32_q4_0PKcPcEELi32EEvS1_S2_lllllllllllllll.private_seg_size, 0
	.set _ZL9cpy_f32_qIXadL_ZL17cpy_blck_f32_q4_0PKcPcEELi32EEvS1_S2_lllllllllllllll.uses_vcc, 1
	.set _ZL9cpy_f32_qIXadL_ZL17cpy_blck_f32_q4_0PKcPcEELi32EEvS1_S2_lllllllllllllll.uses_flat_scratch, 0
	.set _ZL9cpy_f32_qIXadL_ZL17cpy_blck_f32_q4_0PKcPcEELi32EEvS1_S2_lllllllllllllll.has_dyn_sized_stack, 0
	.set _ZL9cpy_f32_qIXadL_ZL17cpy_blck_f32_q4_0PKcPcEELi32EEvS1_S2_lllllllllllllll.has_recursion, 0
	.set _ZL9cpy_f32_qIXadL_ZL17cpy_blck_f32_q4_0PKcPcEELi32EEvS1_S2_lllllllllllllll.has_indirect_call, 0
	.section	.AMDGPU.csdata,"",@progbits
; Kernel info:
; codeLenInByte = 7284
; TotalNumSgprs: 56
; NumVgprs: 48
; ScratchSize: 0
; MemoryBound: 0
; FloatMode: 240
; IeeeMode: 1
; LDSByteSize: 0 bytes/workgroup (compile time only)
; SGPRBlocks: 6
; VGPRBlocks: 11
; NumSGPRsForWavesPerEU: 56
; NumVGPRsForWavesPerEU: 48
; Occupancy: 5
; WaveLimiterHint : 0
; COMPUTE_PGM_RSRC2:SCRATCH_EN: 0
; COMPUTE_PGM_RSRC2:USER_SGPR: 6
; COMPUTE_PGM_RSRC2:TRAP_HANDLER: 0
; COMPUTE_PGM_RSRC2:TGID_X_EN: 1
; COMPUTE_PGM_RSRC2:TGID_Y_EN: 0
; COMPUTE_PGM_RSRC2:TGID_Z_EN: 0
; COMPUTE_PGM_RSRC2:TIDIG_COMP_CNT: 0
	.section	.text._ZL9cpy_q_f32IXadL_ZL14cpy_blck_q_f32IXadL_ZL15dequantize_q4_0PKvliR15HIP_vector_typeIfLj2EEEELi32EEvPKcPcEELi32EEvS7_S8_lllllllllllllll,"axG",@progbits,_ZL9cpy_q_f32IXadL_ZL14cpy_blck_q_f32IXadL_ZL15dequantize_q4_0PKvliR15HIP_vector_typeIfLj2EEEELi32EEvPKcPcEELi32EEvS7_S8_lllllllllllllll,comdat
	.globl	_ZL9cpy_q_f32IXadL_ZL14cpy_blck_q_f32IXadL_ZL15dequantize_q4_0PKvliR15HIP_vector_typeIfLj2EEEELi32EEvPKcPcEELi32EEvS7_S8_lllllllllllllll ; -- Begin function _ZL9cpy_q_f32IXadL_ZL14cpy_blck_q_f32IXadL_ZL15dequantize_q4_0PKvliR15HIP_vector_typeIfLj2EEEELi32EEvPKcPcEELi32EEvS7_S8_lllllllllllllll
	.p2align	8
	.type	_ZL9cpy_q_f32IXadL_ZL14cpy_blck_q_f32IXadL_ZL15dequantize_q4_0PKvliR15HIP_vector_typeIfLj2EEEELi32EEvPKcPcEELi32EEvS7_S8_lllllllllllllll,@function
_ZL9cpy_q_f32IXadL_ZL14cpy_blck_q_f32IXadL_ZL15dequantize_q4_0PKvliR15HIP_vector_typeIfLj2EEEELi32EEvPKcPcEELi32EEvS7_S8_lllllllllllllll: ; @_ZL9cpy_q_f32IXadL_ZL14cpy_blck_q_f32IXadL_ZL15dequantize_q4_0PKvliR15HIP_vector_typeIfLj2EEEELi32EEvPKcPcEELi32EEvS7_S8_lllllllllllllll
; %bb.0:
	s_load_dword s0, s[4:5], 0x94
	v_mov_b32_e32 v2, 0
	v_mov_b32_e32 v1, v2
	;; [unrolled: 1-line block ×3, first 2 shown]
	s_load_dwordx16 s[8:23], s[4:5], 0x0
	s_waitcnt lgkmcnt(0)
	s_and_b32 s0, s0, 0xffff
	v_mad_u64_u32 v[0:1], s[0:1], s0, v3, v[0:1]
	v_lshlrev_b64 v[4:5], 5, v[0:1]
	v_cmp_gt_i64_e32 vcc, s[12:13], v[4:5]
	s_and_saveexec_b64 s[0:1], vcc
	s_cbranch_execz .LBB3_26
; %bb.1:
	s_mul_i32 s0, s16, s15
	s_mul_hi_u32 s1, s16, s14
	s_add_i32 s0, s1, s0
	s_mul_i32 s1, s17, s14
	s_mul_i32 s16, s16, s14
	s_add_i32 s17, s0, s1
	s_mul_i32 s0, s16, s19
	s_mul_hi_u32 s1, s16, s18
	s_add_i32 s0, s1, s0
	s_mul_i32 s1, s17, s18
	s_add_i32 s19, s0, s1
	v_or_b32_e32 v3, s19, v5
	v_cmp_ne_u64_e32 vcc, 0, v[2:3]
	s_mul_i32 s18, s16, s18
	v_ashrrev_i32_e32 v10, 31, v5
                                        ; implicit-def: $vgpr0_vgpr1
	s_and_saveexec_b64 s[0:1], vcc
	s_xor_b64 s[2:3], exec, s[0:1]
	s_cbranch_execz .LBB3_3
; %bb.2:
	s_ashr_i32 s6, s19, 31
	s_add_u32 s0, s18, s6
	s_mov_b32 s7, s6
	s_addc_u32 s1, s19, s6
	s_xor_b64 s[12:13], s[0:1], s[6:7]
	v_cvt_f32_u32_e32 v0, s12
	v_cvt_f32_u32_e32 v1, s13
	s_sub_u32 s7, 0, s12
	s_subb_u32 s24, 0, s13
	v_madmk_f32 v0, v1, 0x4f800000, v0
	v_rcp_f32_e32 v0, v0
	v_mul_f32_e32 v0, 0x5f7ffffc, v0
	v_mul_f32_e32 v1, 0x2f800000, v0
	v_trunc_f32_e32 v1, v1
	v_madmk_f32 v0, v1, 0xcf800000, v0
	v_cvt_u32_f32_e32 v1, v1
	v_cvt_u32_f32_e32 v0, v0
	v_readfirstlane_b32 s25, v1
	v_readfirstlane_b32 s0, v0
	s_mul_i32 s1, s7, s25
	s_mul_hi_u32 s27, s7, s0
	s_mul_i32 s26, s24, s0
	s_add_i32 s1, s27, s1
	s_add_i32 s1, s1, s26
	s_mul_i32 s28, s7, s0
	s_mul_i32 s27, s0, s1
	s_mul_hi_u32 s29, s0, s28
	s_mul_hi_u32 s26, s0, s1
	s_add_u32 s27, s29, s27
	s_addc_u32 s26, 0, s26
	s_mul_hi_u32 s30, s25, s28
	s_mul_i32 s28, s25, s28
	s_add_u32 s27, s27, s28
	s_mul_hi_u32 s29, s25, s1
	s_addc_u32 s26, s26, s30
	s_addc_u32 s27, s29, 0
	s_mul_i32 s1, s25, s1
	s_add_u32 s1, s26, s1
	s_addc_u32 s26, 0, s27
	s_add_u32 s27, s0, s1
	s_cselect_b64 s[0:1], -1, 0
	s_cmp_lg_u64 s[0:1], 0
	s_addc_u32 s25, s25, s26
	s_mul_i32 s0, s7, s25
	s_mul_hi_u32 s1, s7, s27
	s_add_i32 s0, s1, s0
	s_mul_i32 s24, s24, s27
	s_add_i32 s0, s0, s24
	s_mul_i32 s7, s7, s27
	s_mul_hi_u32 s24, s25, s7
	s_mul_i32 s26, s25, s7
	s_mul_i32 s29, s27, s0
	s_mul_hi_u32 s7, s27, s7
	s_mul_hi_u32 s28, s27, s0
	s_add_u32 s7, s7, s29
	s_addc_u32 s28, 0, s28
	s_add_u32 s7, s7, s26
	s_mul_hi_u32 s1, s25, s0
	s_addc_u32 s7, s28, s24
	s_addc_u32 s1, s1, 0
	s_mul_i32 s0, s25, s0
	s_add_u32 s0, s7, s0
	s_addc_u32 s7, 0, s1
	s_add_u32 s24, s27, s0
	s_cselect_b64 s[0:1], -1, 0
	s_cmp_lg_u64 s[0:1], 0
	v_add_co_u32_e32 v0, vcc, v4, v10
	s_addc_u32 s7, s25, s7
	v_xor_b32_e32 v6, v0, v10
	v_mad_u64_u32 v[0:1], s[0:1], v6, s7, 0
	v_mul_hi_u32 v3, v6, s24
	v_addc_co_u32_e32 v2, vcc, v5, v10, vcc
	v_xor_b32_e32 v7, v2, v10
	v_add_co_u32_e32 v8, vcc, v3, v0
	v_addc_co_u32_e32 v9, vcc, 0, v1, vcc
	v_mad_u64_u32 v[0:1], s[0:1], v7, s24, 0
	v_mad_u64_u32 v[2:3], s[0:1], v7, s7, 0
	v_add_co_u32_e32 v0, vcc, v8, v0
	v_addc_co_u32_e32 v0, vcc, v9, v1, vcc
	v_addc_co_u32_e32 v1, vcc, 0, v3, vcc
	v_add_co_u32_e32 v2, vcc, v0, v2
	v_addc_co_u32_e32 v3, vcc, 0, v1, vcc
	v_mul_lo_u32 v8, s13, v2
	v_mul_lo_u32 v9, s12, v3
	v_mad_u64_u32 v[0:1], s[0:1], s12, v2, 0
	v_add3_u32 v1, v1, v9, v8
	v_sub_u32_e32 v8, v7, v1
	v_mov_b32_e32 v9, s13
	v_sub_co_u32_e32 v0, vcc, v6, v0
	v_subb_co_u32_e64 v6, s[0:1], v8, v9, vcc
	v_subrev_co_u32_e64 v8, s[0:1], s12, v0
	v_subbrev_co_u32_e64 v6, s[0:1], 0, v6, s[0:1]
	v_cmp_le_u32_e64 s[0:1], s13, v6
	v_cndmask_b32_e64 v9, 0, -1, s[0:1]
	v_cmp_le_u32_e64 s[0:1], s12, v8
	v_cndmask_b32_e64 v8, 0, -1, s[0:1]
	v_cmp_eq_u32_e64 s[0:1], s13, v6
	v_cndmask_b32_e64 v6, v9, v8, s[0:1]
	v_add_co_u32_e64 v8, s[0:1], 2, v2
	v_subb_co_u32_e32 v1, vcc, v7, v1, vcc
	v_addc_co_u32_e64 v9, s[0:1], 0, v3, s[0:1]
	v_cmp_le_u32_e32 vcc, s13, v1
	v_add_co_u32_e64 v11, s[0:1], 1, v2
	v_cndmask_b32_e64 v7, 0, -1, vcc
	v_cmp_le_u32_e32 vcc, s12, v0
	v_addc_co_u32_e64 v12, s[0:1], 0, v3, s[0:1]
	v_cndmask_b32_e64 v0, 0, -1, vcc
	v_cmp_eq_u32_e32 vcc, s13, v1
	v_cmp_ne_u32_e64 s[0:1], 0, v6
	v_cndmask_b32_e32 v0, v7, v0, vcc
	v_cndmask_b32_e64 v6, v12, v9, s[0:1]
	v_cmp_ne_u32_e32 vcc, 0, v0
	v_cndmask_b32_e64 v1, v11, v8, s[0:1]
	v_cndmask_b32_e32 v0, v3, v6, vcc
	v_cndmask_b32_e32 v1, v2, v1, vcc
	v_xor_b32_e32 v2, s6, v10
	v_xor_b32_e32 v3, v0, v2
	;; [unrolled: 1-line block ×3, first 2 shown]
	v_sub_co_u32_e32 v0, vcc, v0, v2
	v_subb_co_u32_e32 v1, vcc, v3, v2, vcc
.LBB3_3:
	s_andn2_saveexec_b64 s[0:1], s[2:3]
	s_cbranch_execz .LBB3_5
; %bb.4:
	v_cvt_f32_u32_e32 v0, s18
	s_sub_i32 s2, 0, s18
	v_rcp_iflag_f32_e32 v0, v0
	v_mul_f32_e32 v0, 0x4f7ffffe, v0
	v_cvt_u32_f32_e32 v0, v0
	v_mul_lo_u32 v1, s2, v0
	v_mul_hi_u32 v1, v0, v1
	v_add_u32_e32 v0, v0, v1
	v_mul_hi_u32 v0, v4, v0
	v_mul_lo_u32 v1, v0, s18
	v_add_u32_e32 v2, 1, v0
	v_sub_u32_e32 v1, v4, v1
	v_subrev_u32_e32 v3, s18, v1
	v_cmp_le_u32_e32 vcc, s18, v1
	v_cndmask_b32_e32 v1, v1, v3, vcc
	v_cndmask_b32_e32 v0, v0, v2, vcc
	v_add_u32_e32 v2, 1, v0
	v_cmp_le_u32_e32 vcc, s18, v1
	v_cndmask_b32_e32 v0, v0, v2, vcc
	v_mov_b32_e32 v1, 0
.LBB3_5:
	s_or_b64 exec, exec, s[0:1]
	v_mul_lo_u32 v6, s19, v0
	v_mul_lo_u32 v7, s18, v1
	v_mad_u64_u32 v[2:3], s[0:1], s18, v0, 0
	v_add3_u32 v3, v3, v7, v6
	v_sub_co_u32_e32 v6, vcc, v4, v2
	v_subb_co_u32_e32 v7, vcc, v5, v3, vcc
	v_or_b32_e32 v3, s17, v7
	v_mov_b32_e32 v2, 0
	v_cmp_ne_u64_e32 vcc, 0, v[2:3]
                                        ; implicit-def: $vgpr2_vgpr3
	s_and_saveexec_b64 s[0:1], vcc
	s_xor_b64 s[2:3], exec, s[0:1]
	s_cbranch_execz .LBB3_7
; %bb.6:
	s_ashr_i32 s6, s17, 31
	s_add_u32 s0, s16, s6
	s_mov_b32 s7, s6
	s_addc_u32 s1, s17, s6
	s_xor_b64 s[12:13], s[0:1], s[6:7]
	v_cvt_f32_u32_e32 v2, s12
	v_cvt_f32_u32_e32 v3, s13
	s_sub_u32 s7, 0, s12
	s_subb_u32 s18, 0, s13
	v_ashrrev_i32_e32 v11, 31, v7
	v_madmk_f32 v2, v3, 0x4f800000, v2
	v_rcp_f32_e32 v2, v2
	v_mul_f32_e32 v2, 0x5f7ffffc, v2
	v_mul_f32_e32 v3, 0x2f800000, v2
	v_trunc_f32_e32 v3, v3
	v_madmk_f32 v2, v3, 0xcf800000, v2
	v_cvt_u32_f32_e32 v3, v3
	v_cvt_u32_f32_e32 v2, v2
	v_readfirstlane_b32 s19, v3
	v_readfirstlane_b32 s0, v2
	s_mul_i32 s1, s7, s19
	s_mul_hi_u32 s25, s7, s0
	s_mul_i32 s24, s18, s0
	s_add_i32 s1, s25, s1
	s_add_i32 s1, s1, s24
	s_mul_i32 s26, s7, s0
	s_mul_i32 s25, s0, s1
	s_mul_hi_u32 s27, s0, s26
	s_mul_hi_u32 s24, s0, s1
	s_add_u32 s25, s27, s25
	s_addc_u32 s24, 0, s24
	s_mul_hi_u32 s28, s19, s26
	s_mul_i32 s26, s19, s26
	s_add_u32 s25, s25, s26
	s_mul_hi_u32 s27, s19, s1
	s_addc_u32 s24, s24, s28
	s_addc_u32 s25, s27, 0
	s_mul_i32 s1, s19, s1
	s_add_u32 s1, s24, s1
	s_addc_u32 s24, 0, s25
	s_add_u32 s25, s0, s1
	s_cselect_b64 s[0:1], -1, 0
	s_cmp_lg_u64 s[0:1], 0
	s_addc_u32 s19, s19, s24
	s_mul_i32 s0, s7, s19
	s_mul_hi_u32 s1, s7, s25
	s_add_i32 s0, s1, s0
	s_mul_i32 s18, s18, s25
	s_add_i32 s0, s0, s18
	s_mul_i32 s7, s7, s25
	s_mul_hi_u32 s18, s19, s7
	s_mul_i32 s24, s19, s7
	s_mul_i32 s27, s25, s0
	s_mul_hi_u32 s7, s25, s7
	s_mul_hi_u32 s26, s25, s0
	s_add_u32 s7, s7, s27
	s_addc_u32 s26, 0, s26
	s_add_u32 s7, s7, s24
	s_mul_hi_u32 s1, s19, s0
	s_addc_u32 s7, s26, s18
	s_addc_u32 s1, s1, 0
	s_mul_i32 s0, s19, s0
	s_add_u32 s0, s7, s0
	s_addc_u32 s7, 0, s1
	s_add_u32 s18, s25, s0
	s_cselect_b64 s[0:1], -1, 0
	s_cmp_lg_u64 s[0:1], 0
	v_add_co_u32_e32 v2, vcc, v6, v11
	s_addc_u32 s7, s19, s7
	v_xor_b32_e32 v12, v2, v11
	v_mad_u64_u32 v[2:3], s[0:1], v12, s7, 0
	v_mul_hi_u32 v9, v12, s18
	v_addc_co_u32_e32 v8, vcc, v7, v11, vcc
	v_xor_b32_e32 v13, v8, v11
	v_add_co_u32_e32 v14, vcc, v9, v2
	v_addc_co_u32_e32 v15, vcc, 0, v3, vcc
	v_mad_u64_u32 v[2:3], s[0:1], v13, s18, 0
	v_mad_u64_u32 v[8:9], s[0:1], v13, s7, 0
	v_add_co_u32_e32 v2, vcc, v14, v2
	v_addc_co_u32_e32 v2, vcc, v15, v3, vcc
	v_addc_co_u32_e32 v3, vcc, 0, v9, vcc
	v_add_co_u32_e32 v8, vcc, v2, v8
	v_addc_co_u32_e32 v9, vcc, 0, v3, vcc
	v_mul_lo_u32 v14, s13, v8
	v_mul_lo_u32 v15, s12, v9
	v_mad_u64_u32 v[2:3], s[0:1], s12, v8, 0
	v_add3_u32 v3, v3, v15, v14
	v_sub_u32_e32 v14, v13, v3
	v_mov_b32_e32 v15, s13
	v_sub_co_u32_e32 v2, vcc, v12, v2
	v_subb_co_u32_e64 v12, s[0:1], v14, v15, vcc
	v_subrev_co_u32_e64 v14, s[0:1], s12, v2
	v_subbrev_co_u32_e64 v12, s[0:1], 0, v12, s[0:1]
	v_cmp_le_u32_e64 s[0:1], s13, v12
	v_cndmask_b32_e64 v15, 0, -1, s[0:1]
	v_cmp_le_u32_e64 s[0:1], s12, v14
	v_cndmask_b32_e64 v14, 0, -1, s[0:1]
	v_cmp_eq_u32_e64 s[0:1], s13, v12
	v_cndmask_b32_e64 v12, v15, v14, s[0:1]
	v_add_co_u32_e64 v14, s[0:1], 2, v8
	v_subb_co_u32_e32 v3, vcc, v13, v3, vcc
	v_addc_co_u32_e64 v15, s[0:1], 0, v9, s[0:1]
	v_cmp_le_u32_e32 vcc, s13, v3
	v_add_co_u32_e64 v16, s[0:1], 1, v8
	v_cndmask_b32_e64 v13, 0, -1, vcc
	v_cmp_le_u32_e32 vcc, s12, v2
	v_addc_co_u32_e64 v17, s[0:1], 0, v9, s[0:1]
	v_cndmask_b32_e64 v2, 0, -1, vcc
	v_cmp_eq_u32_e32 vcc, s13, v3
	v_cmp_ne_u32_e64 s[0:1], 0, v12
	v_cndmask_b32_e32 v2, v13, v2, vcc
	v_cndmask_b32_e64 v12, v17, v15, s[0:1]
	v_cmp_ne_u32_e32 vcc, 0, v2
	v_cndmask_b32_e64 v3, v16, v14, s[0:1]
	v_cndmask_b32_e32 v2, v9, v12, vcc
	v_cndmask_b32_e32 v3, v8, v3, vcc
	v_xor_b32_e32 v8, s6, v11
	v_xor_b32_e32 v9, v2, v8
	;; [unrolled: 1-line block ×3, first 2 shown]
	v_sub_co_u32_e32 v2, vcc, v2, v8
	v_subb_co_u32_e32 v3, vcc, v9, v8, vcc
.LBB3_7:
	s_andn2_saveexec_b64 s[0:1], s[2:3]
	s_cbranch_execz .LBB3_9
; %bb.8:
	v_cvt_f32_u32_e32 v2, s16
	s_sub_i32 s2, 0, s16
	v_rcp_iflag_f32_e32 v2, v2
	v_mul_f32_e32 v2, 0x4f7ffffe, v2
	v_cvt_u32_f32_e32 v2, v2
	v_mul_lo_u32 v3, s2, v2
	v_mul_hi_u32 v3, v2, v3
	v_add_u32_e32 v2, v2, v3
	v_mul_hi_u32 v2, v6, v2
	v_mul_lo_u32 v3, v2, s16
	v_add_u32_e32 v8, 1, v2
	v_sub_u32_e32 v3, v6, v3
	v_subrev_u32_e32 v9, s16, v3
	v_cmp_le_u32_e32 vcc, s16, v3
	v_cndmask_b32_e32 v3, v3, v9, vcc
	v_cndmask_b32_e32 v2, v2, v8, vcc
	v_add_u32_e32 v8, 1, v2
	v_cmp_le_u32_e32 vcc, s16, v3
	v_cndmask_b32_e32 v2, v2, v8, vcc
	v_mov_b32_e32 v3, 0
.LBB3_9:
	s_or_b64 exec, exec, s[0:1]
	v_mul_lo_u32 v11, s17, v2
	v_mul_lo_u32 v12, s16, v3
	v_mad_u64_u32 v[8:9], s[0:1], s16, v2, 0
	v_add3_u32 v9, v9, v12, v11
	v_sub_co_u32_e32 v12, vcc, v6, v8
	v_subb_co_u32_e32 v13, vcc, v7, v9, vcc
	v_or_b32_e32 v7, s15, v13
	v_mov_b32_e32 v6, 0
	v_cmp_ne_u64_e32 vcc, 0, v[6:7]
                                        ; implicit-def: $vgpr6_vgpr7
	s_and_saveexec_b64 s[0:1], vcc
	s_xor_b64 s[2:3], exec, s[0:1]
	s_cbranch_execz .LBB3_11
; %bb.10:
	s_ashr_i32 s6, s15, 31
	s_add_u32 s0, s14, s6
	s_mov_b32 s7, s6
	s_addc_u32 s1, s15, s6
	s_xor_b64 s[12:13], s[0:1], s[6:7]
	v_cvt_f32_u32_e32 v6, s12
	v_cvt_f32_u32_e32 v7, s13
	s_sub_u32 s7, 0, s12
	s_subb_u32 s16, 0, s13
	v_ashrrev_i32_e32 v11, 31, v13
	v_madmk_f32 v6, v7, 0x4f800000, v6
	v_rcp_f32_e32 v6, v6
	v_mul_f32_e32 v6, 0x5f7ffffc, v6
	v_mul_f32_e32 v7, 0x2f800000, v6
	v_trunc_f32_e32 v7, v7
	v_madmk_f32 v6, v7, 0xcf800000, v6
	v_cvt_u32_f32_e32 v7, v7
	v_cvt_u32_f32_e32 v6, v6
	v_readfirstlane_b32 s17, v7
	v_readfirstlane_b32 s0, v6
	s_mul_i32 s1, s7, s17
	s_mul_hi_u32 s19, s7, s0
	s_mul_i32 s18, s16, s0
	s_add_i32 s1, s19, s1
	s_add_i32 s1, s1, s18
	s_mul_i32 s24, s7, s0
	s_mul_i32 s19, s0, s1
	s_mul_hi_u32 s25, s0, s24
	s_mul_hi_u32 s18, s0, s1
	s_add_u32 s19, s25, s19
	s_addc_u32 s18, 0, s18
	s_mul_hi_u32 s26, s17, s24
	s_mul_i32 s24, s17, s24
	s_add_u32 s19, s19, s24
	s_mul_hi_u32 s25, s17, s1
	s_addc_u32 s18, s18, s26
	s_addc_u32 s19, s25, 0
	s_mul_i32 s1, s17, s1
	s_add_u32 s1, s18, s1
	s_addc_u32 s18, 0, s19
	s_add_u32 s19, s0, s1
	s_cselect_b64 s[0:1], -1, 0
	s_cmp_lg_u64 s[0:1], 0
	s_addc_u32 s17, s17, s18
	s_mul_i32 s0, s7, s17
	s_mul_hi_u32 s1, s7, s19
	s_add_i32 s0, s1, s0
	s_mul_i32 s16, s16, s19
	s_add_i32 s0, s0, s16
	s_mul_i32 s7, s7, s19
	s_mul_hi_u32 s16, s17, s7
	s_mul_i32 s18, s17, s7
	s_mul_i32 s25, s19, s0
	s_mul_hi_u32 s7, s19, s7
	s_mul_hi_u32 s24, s19, s0
	s_add_u32 s7, s7, s25
	s_addc_u32 s24, 0, s24
	s_add_u32 s7, s7, s18
	s_mul_hi_u32 s1, s17, s0
	s_addc_u32 s7, s24, s16
	s_addc_u32 s1, s1, 0
	s_mul_i32 s0, s17, s0
	s_add_u32 s0, s7, s0
	s_addc_u32 s7, 0, s1
	s_add_u32 s16, s19, s0
	s_cselect_b64 s[0:1], -1, 0
	s_cmp_lg_u64 s[0:1], 0
	v_add_co_u32_e32 v6, vcc, v12, v11
	s_addc_u32 s7, s17, s7
	v_xor_b32_e32 v14, v6, v11
	v_mad_u64_u32 v[6:7], s[0:1], v14, s7, 0
	v_mul_hi_u32 v9, v14, s16
	v_addc_co_u32_e32 v8, vcc, v13, v11, vcc
	v_xor_b32_e32 v15, v8, v11
	v_add_co_u32_e32 v16, vcc, v9, v6
	v_addc_co_u32_e32 v17, vcc, 0, v7, vcc
	v_mad_u64_u32 v[6:7], s[0:1], v15, s16, 0
	v_mad_u64_u32 v[8:9], s[0:1], v15, s7, 0
	v_add_co_u32_e32 v6, vcc, v16, v6
	v_addc_co_u32_e32 v6, vcc, v17, v7, vcc
	v_addc_co_u32_e32 v7, vcc, 0, v9, vcc
	v_add_co_u32_e32 v8, vcc, v6, v8
	v_addc_co_u32_e32 v9, vcc, 0, v7, vcc
	v_mul_lo_u32 v16, s13, v8
	v_mul_lo_u32 v17, s12, v9
	v_mad_u64_u32 v[6:7], s[0:1], s12, v8, 0
	v_add3_u32 v7, v7, v17, v16
	v_sub_u32_e32 v16, v15, v7
	v_mov_b32_e32 v17, s13
	v_sub_co_u32_e32 v6, vcc, v14, v6
	v_subb_co_u32_e64 v14, s[0:1], v16, v17, vcc
	v_subrev_co_u32_e64 v16, s[0:1], s12, v6
	v_subbrev_co_u32_e64 v14, s[0:1], 0, v14, s[0:1]
	v_cmp_le_u32_e64 s[0:1], s13, v14
	v_cndmask_b32_e64 v17, 0, -1, s[0:1]
	v_cmp_le_u32_e64 s[0:1], s12, v16
	v_cndmask_b32_e64 v16, 0, -1, s[0:1]
	v_cmp_eq_u32_e64 s[0:1], s13, v14
	v_cndmask_b32_e64 v14, v17, v16, s[0:1]
	v_add_co_u32_e64 v16, s[0:1], 2, v8
	v_subb_co_u32_e32 v7, vcc, v15, v7, vcc
	v_addc_co_u32_e64 v17, s[0:1], 0, v9, s[0:1]
	v_cmp_le_u32_e32 vcc, s13, v7
	v_add_co_u32_e64 v18, s[0:1], 1, v8
	v_cndmask_b32_e64 v15, 0, -1, vcc
	v_cmp_le_u32_e32 vcc, s12, v6
	v_addc_co_u32_e64 v19, s[0:1], 0, v9, s[0:1]
	v_cndmask_b32_e64 v6, 0, -1, vcc
	v_cmp_eq_u32_e32 vcc, s13, v7
	v_cmp_ne_u32_e64 s[0:1], 0, v14
	v_cndmask_b32_e32 v6, v15, v6, vcc
	v_cndmask_b32_e64 v14, v19, v17, s[0:1]
	v_cmp_ne_u32_e32 vcc, 0, v6
	v_cndmask_b32_e64 v7, v18, v16, s[0:1]
	v_cndmask_b32_e32 v6, v9, v14, vcc
	v_cndmask_b32_e32 v7, v8, v7, vcc
	v_xor_b32_e32 v8, s6, v11
	v_xor_b32_e32 v9, v6, v8
	;; [unrolled: 1-line block ×3, first 2 shown]
	v_sub_co_u32_e32 v6, vcc, v6, v8
	v_subb_co_u32_e32 v7, vcc, v9, v8, vcc
.LBB3_11:
	s_andn2_saveexec_b64 s[0:1], s[2:3]
	s_cbranch_execz .LBB3_13
; %bb.12:
	v_cvt_f32_u32_e32 v6, s14
	s_sub_i32 s2, 0, s14
	v_rcp_iflag_f32_e32 v6, v6
	v_mul_f32_e32 v6, 0x4f7ffffe, v6
	v_cvt_u32_f32_e32 v6, v6
	v_mul_lo_u32 v7, s2, v6
	v_mul_hi_u32 v7, v6, v7
	v_add_u32_e32 v6, v6, v7
	v_mul_hi_u32 v6, v12, v6
	v_mul_lo_u32 v7, v6, s14
	v_add_u32_e32 v8, 1, v6
	v_sub_u32_e32 v7, v12, v7
	v_subrev_u32_e32 v9, s14, v7
	v_cmp_le_u32_e32 vcc, s14, v7
	v_cndmask_b32_e32 v7, v7, v9, vcc
	v_cndmask_b32_e32 v6, v6, v8, vcc
	v_add_u32_e32 v8, 1, v6
	v_cmp_le_u32_e32 vcc, s14, v7
	v_cndmask_b32_e32 v6, v6, v8, vcc
	v_mov_b32_e32 v7, 0
.LBB3_13:
	s_or_b64 exec, exec, s[0:1]
	s_load_dwordx16 s[36:51], s[4:5], 0x40
	v_mov_b32_e32 v8, 0
	s_waitcnt lgkmcnt(0)
	s_mul_i32 s0, s42, s41
	s_mul_hi_u32 s1, s42, s40
	s_mul_i32 s2, s43, s40
	s_mul_i32 s16, s42, s40
	s_add_i32 s17, s1, s0
	s_mul_i32 s0, s16, s45
	s_add_i32 s17, s17, s2
	s_mul_hi_u32 s1, s16, s44
	s_add_i32 s0, s1, s0
	s_mul_i32 s1, s17, s44
	s_add_i32 s18, s0, s1
	v_or_b32_e32 v9, s18, v5
	v_cmp_ne_u64_e32 vcc, 0, v[8:9]
	s_mul_i32 s19, s16, s44
                                        ; implicit-def: $vgpr8_vgpr9
	s_and_saveexec_b64 s[0:1], vcc
	s_xor_b64 s[2:3], exec, s[0:1]
	s_cbranch_execz .LBB3_15
; %bb.14:
	s_ashr_i32 s6, s18, 31
	s_add_u32 s0, s19, s6
	s_mov_b32 s7, s6
	s_addc_u32 s1, s18, s6
	s_xor_b64 s[12:13], s[0:1], s[6:7]
	v_cvt_f32_u32_e32 v8, s12
	v_cvt_f32_u32_e32 v9, s13
	s_sub_u32 s7, 0, s12
	s_subb_u32 s24, 0, s13
	v_madmk_f32 v8, v9, 0x4f800000, v8
	v_rcp_f32_e32 v8, v8
	v_mul_f32_e32 v8, 0x5f7ffffc, v8
	v_mul_f32_e32 v9, 0x2f800000, v8
	v_trunc_f32_e32 v9, v9
	v_madmk_f32 v8, v9, 0xcf800000, v8
	v_cvt_u32_f32_e32 v9, v9
	v_cvt_u32_f32_e32 v8, v8
	v_readfirstlane_b32 s25, v9
	v_readfirstlane_b32 s0, v8
	s_mul_i32 s1, s7, s25
	s_mul_hi_u32 s27, s7, s0
	s_mul_i32 s26, s24, s0
	s_add_i32 s1, s27, s1
	s_add_i32 s1, s1, s26
	s_mul_i32 s28, s7, s0
	s_mul_i32 s27, s0, s1
	s_mul_hi_u32 s29, s0, s28
	s_mul_hi_u32 s26, s0, s1
	s_add_u32 s27, s29, s27
	s_addc_u32 s26, 0, s26
	s_mul_hi_u32 s30, s25, s28
	s_mul_i32 s28, s25, s28
	s_add_u32 s27, s27, s28
	s_mul_hi_u32 s29, s25, s1
	s_addc_u32 s26, s26, s30
	s_addc_u32 s27, s29, 0
	s_mul_i32 s1, s25, s1
	s_add_u32 s1, s26, s1
	s_addc_u32 s26, 0, s27
	s_add_u32 s27, s0, s1
	s_cselect_b64 s[0:1], -1, 0
	s_cmp_lg_u64 s[0:1], 0
	s_addc_u32 s25, s25, s26
	s_mul_i32 s0, s7, s25
	s_mul_hi_u32 s1, s7, s27
	s_add_i32 s0, s1, s0
	s_mul_i32 s24, s24, s27
	s_add_i32 s0, s0, s24
	s_mul_i32 s7, s7, s27
	s_mul_hi_u32 s24, s25, s7
	s_mul_i32 s26, s25, s7
	s_mul_i32 s29, s27, s0
	s_mul_hi_u32 s7, s27, s7
	s_mul_hi_u32 s28, s27, s0
	s_add_u32 s7, s7, s29
	s_addc_u32 s28, 0, s28
	s_add_u32 s7, s7, s26
	s_mul_hi_u32 s1, s25, s0
	s_addc_u32 s7, s28, s24
	s_addc_u32 s1, s1, 0
	s_mul_i32 s0, s25, s0
	s_add_u32 s0, s7, s0
	s_addc_u32 s7, 0, s1
	s_add_u32 s24, s27, s0
	s_cselect_b64 s[0:1], -1, 0
	s_cmp_lg_u64 s[0:1], 0
	v_add_co_u32_e32 v8, vcc, v4, v10
	s_addc_u32 s7, s25, s7
	v_xor_b32_e32 v16, v8, v10
	v_mad_u64_u32 v[8:9], s[0:1], v16, s7, 0
	v_mul_hi_u32 v14, v16, s24
	v_addc_co_u32_e32 v11, vcc, v5, v10, vcc
	v_xor_b32_e32 v11, v11, v10
	v_add_co_u32_e32 v17, vcc, v14, v8
	v_addc_co_u32_e32 v18, vcc, 0, v9, vcc
	v_mad_u64_u32 v[8:9], s[0:1], v11, s24, 0
	v_mad_u64_u32 v[14:15], s[0:1], v11, s7, 0
	v_add_co_u32_e32 v8, vcc, v17, v8
	v_addc_co_u32_e32 v8, vcc, v18, v9, vcc
	v_addc_co_u32_e32 v9, vcc, 0, v15, vcc
	v_add_co_u32_e32 v14, vcc, v8, v14
	v_addc_co_u32_e32 v15, vcc, 0, v9, vcc
	v_mul_lo_u32 v17, s13, v14
	v_mul_lo_u32 v18, s12, v15
	v_mad_u64_u32 v[8:9], s[0:1], s12, v14, 0
	v_xor_b32_e32 v10, s6, v10
	v_add3_u32 v9, v9, v18, v17
	v_sub_u32_e32 v17, v11, v9
	v_mov_b32_e32 v18, s13
	v_sub_co_u32_e32 v8, vcc, v16, v8
	v_subb_co_u32_e64 v16, s[0:1], v17, v18, vcc
	v_subrev_co_u32_e64 v17, s[0:1], s12, v8
	v_subbrev_co_u32_e64 v16, s[0:1], 0, v16, s[0:1]
	v_cmp_le_u32_e64 s[0:1], s13, v16
	v_cndmask_b32_e64 v18, 0, -1, s[0:1]
	v_cmp_le_u32_e64 s[0:1], s12, v17
	v_cndmask_b32_e64 v17, 0, -1, s[0:1]
	v_cmp_eq_u32_e64 s[0:1], s13, v16
	v_cndmask_b32_e64 v16, v18, v17, s[0:1]
	v_add_co_u32_e64 v17, s[0:1], 2, v14
	v_subb_co_u32_e32 v9, vcc, v11, v9, vcc
	v_addc_co_u32_e64 v18, s[0:1], 0, v15, s[0:1]
	v_cmp_le_u32_e32 vcc, s13, v9
	v_add_co_u32_e64 v19, s[0:1], 1, v14
	v_cndmask_b32_e64 v11, 0, -1, vcc
	v_cmp_le_u32_e32 vcc, s12, v8
	v_addc_co_u32_e64 v20, s[0:1], 0, v15, s[0:1]
	v_cndmask_b32_e64 v8, 0, -1, vcc
	v_cmp_eq_u32_e32 vcc, s13, v9
	v_cmp_ne_u32_e64 s[0:1], 0, v16
	v_cndmask_b32_e32 v8, v11, v8, vcc
	v_cndmask_b32_e64 v16, v20, v18, s[0:1]
	v_cmp_ne_u32_e32 vcc, 0, v8
	v_cndmask_b32_e64 v9, v19, v17, s[0:1]
	v_cndmask_b32_e32 v8, v15, v16, vcc
	v_cndmask_b32_e32 v9, v14, v9, vcc
	v_xor_b32_e32 v11, v8, v10
	v_xor_b32_e32 v8, v9, v10
	v_sub_co_u32_e32 v8, vcc, v8, v10
	v_subb_co_u32_e32 v9, vcc, v11, v10, vcc
.LBB3_15:
	s_andn2_saveexec_b64 s[0:1], s[2:3]
	s_cbranch_execz .LBB3_17
; %bb.16:
	v_cvt_f32_u32_e32 v8, s19
	s_sub_i32 s2, 0, s19
	v_rcp_iflag_f32_e32 v8, v8
	v_mul_f32_e32 v8, 0x4f7ffffe, v8
	v_cvt_u32_f32_e32 v8, v8
	v_mul_lo_u32 v9, s2, v8
	v_mul_hi_u32 v9, v8, v9
	v_add_u32_e32 v8, v8, v9
	v_mul_hi_u32 v8, v4, v8
	v_mul_lo_u32 v9, v8, s19
	v_add_u32_e32 v10, 1, v8
	v_sub_u32_e32 v9, v4, v9
	v_subrev_u32_e32 v11, s19, v9
	v_cmp_le_u32_e32 vcc, s19, v9
	v_cndmask_b32_e32 v9, v9, v11, vcc
	v_cndmask_b32_e32 v8, v8, v10, vcc
	v_add_u32_e32 v10, 1, v8
	v_cmp_le_u32_e32 vcc, s19, v9
	v_cndmask_b32_e32 v8, v8, v10, vcc
	v_mov_b32_e32 v9, 0
.LBB3_17:
	s_or_b64 exec, exec, s[0:1]
	v_mul_lo_u32 v14, s18, v8
	v_mul_lo_u32 v15, s19, v9
	v_mad_u64_u32 v[10:11], s[0:1], s19, v8, 0
	v_add3_u32 v11, v11, v15, v14
	v_sub_co_u32_e32 v10, vcc, v4, v10
	v_subb_co_u32_e32 v11, vcc, v5, v11, vcc
	v_or_b32_e32 v5, s17, v11
	v_mov_b32_e32 v4, 0
	v_cmp_ne_u64_e32 vcc, 0, v[4:5]
                                        ; implicit-def: $vgpr4_vgpr5
	s_and_saveexec_b64 s[0:1], vcc
	s_xor_b64 s[2:3], exec, s[0:1]
	s_cbranch_execz .LBB3_19
; %bb.18:
	s_ashr_i32 s6, s17, 31
	s_add_u32 s0, s16, s6
	s_mov_b32 s7, s6
	s_addc_u32 s1, s17, s6
	s_xor_b64 s[12:13], s[0:1], s[6:7]
	v_cvt_f32_u32_e32 v4, s12
	v_cvt_f32_u32_e32 v5, s13
	s_sub_u32 s7, 0, s12
	s_subb_u32 s18, 0, s13
	v_ashrrev_i32_e32 v16, 31, v11
	v_madmk_f32 v4, v5, 0x4f800000, v4
	v_rcp_f32_e32 v4, v4
	v_mul_f32_e32 v4, 0x5f7ffffc, v4
	v_mul_f32_e32 v5, 0x2f800000, v4
	v_trunc_f32_e32 v5, v5
	v_madmk_f32 v4, v5, 0xcf800000, v4
	v_cvt_u32_f32_e32 v5, v5
	v_cvt_u32_f32_e32 v4, v4
	v_readfirstlane_b32 s19, v5
	v_readfirstlane_b32 s0, v4
	s_mul_i32 s1, s7, s19
	s_mul_hi_u32 s25, s7, s0
	s_mul_i32 s24, s18, s0
	s_add_i32 s1, s25, s1
	s_add_i32 s1, s1, s24
	s_mul_i32 s26, s7, s0
	s_mul_i32 s25, s0, s1
	s_mul_hi_u32 s27, s0, s26
	s_mul_hi_u32 s24, s0, s1
	s_add_u32 s25, s27, s25
	s_addc_u32 s24, 0, s24
	s_mul_hi_u32 s28, s19, s26
	s_mul_i32 s26, s19, s26
	s_add_u32 s25, s25, s26
	s_mul_hi_u32 s27, s19, s1
	s_addc_u32 s24, s24, s28
	s_addc_u32 s25, s27, 0
	s_mul_i32 s1, s19, s1
	s_add_u32 s1, s24, s1
	s_addc_u32 s24, 0, s25
	s_add_u32 s25, s0, s1
	s_cselect_b64 s[0:1], -1, 0
	s_cmp_lg_u64 s[0:1], 0
	s_addc_u32 s19, s19, s24
	s_mul_i32 s0, s7, s19
	s_mul_hi_u32 s1, s7, s25
	s_add_i32 s0, s1, s0
	s_mul_i32 s18, s18, s25
	s_add_i32 s0, s0, s18
	s_mul_i32 s7, s7, s25
	s_mul_hi_u32 s18, s19, s7
	s_mul_i32 s24, s19, s7
	s_mul_i32 s27, s25, s0
	s_mul_hi_u32 s7, s25, s7
	s_mul_hi_u32 s26, s25, s0
	s_add_u32 s7, s7, s27
	s_addc_u32 s26, 0, s26
	s_add_u32 s7, s7, s24
	s_mul_hi_u32 s1, s19, s0
	s_addc_u32 s7, s26, s18
	s_addc_u32 s1, s1, 0
	s_mul_i32 s0, s19, s0
	s_add_u32 s0, s7, s0
	s_addc_u32 s7, 0, s1
	s_add_u32 s18, s25, s0
	s_cselect_b64 s[0:1], -1, 0
	s_cmp_lg_u64 s[0:1], 0
	v_add_co_u32_e32 v4, vcc, v10, v16
	s_addc_u32 s7, s19, s7
	v_xor_b32_e32 v17, v4, v16
	v_mad_u64_u32 v[4:5], s[0:1], v17, s7, 0
	v_mul_hi_u32 v15, v17, s18
	v_addc_co_u32_e32 v14, vcc, v11, v16, vcc
	v_xor_b32_e32 v18, v14, v16
	v_add_co_u32_e32 v19, vcc, v15, v4
	v_addc_co_u32_e32 v20, vcc, 0, v5, vcc
	v_mad_u64_u32 v[4:5], s[0:1], v18, s18, 0
	v_mad_u64_u32 v[14:15], s[0:1], v18, s7, 0
	v_add_co_u32_e32 v4, vcc, v19, v4
	v_addc_co_u32_e32 v4, vcc, v20, v5, vcc
	v_addc_co_u32_e32 v5, vcc, 0, v15, vcc
	v_add_co_u32_e32 v14, vcc, v4, v14
	v_addc_co_u32_e32 v15, vcc, 0, v5, vcc
	v_mul_lo_u32 v19, s13, v14
	v_mul_lo_u32 v20, s12, v15
	v_mad_u64_u32 v[4:5], s[0:1], s12, v14, 0
	v_add3_u32 v5, v5, v20, v19
	v_sub_u32_e32 v19, v18, v5
	v_mov_b32_e32 v20, s13
	v_sub_co_u32_e32 v4, vcc, v17, v4
	v_subb_co_u32_e64 v17, s[0:1], v19, v20, vcc
	v_subrev_co_u32_e64 v19, s[0:1], s12, v4
	v_subbrev_co_u32_e64 v17, s[0:1], 0, v17, s[0:1]
	v_cmp_le_u32_e64 s[0:1], s13, v17
	v_cndmask_b32_e64 v20, 0, -1, s[0:1]
	v_cmp_le_u32_e64 s[0:1], s12, v19
	v_cndmask_b32_e64 v19, 0, -1, s[0:1]
	v_cmp_eq_u32_e64 s[0:1], s13, v17
	v_cndmask_b32_e64 v17, v20, v19, s[0:1]
	v_add_co_u32_e64 v19, s[0:1], 2, v14
	v_subb_co_u32_e32 v5, vcc, v18, v5, vcc
	v_addc_co_u32_e64 v20, s[0:1], 0, v15, s[0:1]
	v_cmp_le_u32_e32 vcc, s13, v5
	v_add_co_u32_e64 v21, s[0:1], 1, v14
	v_cndmask_b32_e64 v18, 0, -1, vcc
	v_cmp_le_u32_e32 vcc, s12, v4
	v_addc_co_u32_e64 v22, s[0:1], 0, v15, s[0:1]
	v_cndmask_b32_e64 v4, 0, -1, vcc
	v_cmp_eq_u32_e32 vcc, s13, v5
	v_cmp_ne_u32_e64 s[0:1], 0, v17
	v_cndmask_b32_e32 v4, v18, v4, vcc
	v_cndmask_b32_e64 v17, v22, v20, s[0:1]
	v_cmp_ne_u32_e32 vcc, 0, v4
	v_cndmask_b32_e64 v5, v21, v19, s[0:1]
	v_cndmask_b32_e32 v4, v15, v17, vcc
	v_cndmask_b32_e32 v5, v14, v5, vcc
	v_xor_b32_e32 v14, s6, v16
	v_xor_b32_e32 v15, v4, v14
	;; [unrolled: 1-line block ×3, first 2 shown]
	v_sub_co_u32_e32 v4, vcc, v4, v14
	v_subb_co_u32_e32 v5, vcc, v15, v14, vcc
.LBB3_19:
	s_andn2_saveexec_b64 s[0:1], s[2:3]
	s_cbranch_execz .LBB3_21
; %bb.20:
	v_cvt_f32_u32_e32 v4, s16
	s_sub_i32 s2, 0, s16
	v_rcp_iflag_f32_e32 v4, v4
	v_mul_f32_e32 v4, 0x4f7ffffe, v4
	v_cvt_u32_f32_e32 v4, v4
	v_mul_lo_u32 v5, s2, v4
	v_mul_hi_u32 v5, v4, v5
	v_add_u32_e32 v4, v4, v5
	v_mul_hi_u32 v4, v10, v4
	v_mul_lo_u32 v5, v4, s16
	v_add_u32_e32 v14, 1, v4
	v_sub_u32_e32 v5, v10, v5
	v_subrev_u32_e32 v15, s16, v5
	v_cmp_le_u32_e32 vcc, s16, v5
	v_cndmask_b32_e32 v5, v5, v15, vcc
	v_cndmask_b32_e32 v4, v4, v14, vcc
	v_add_u32_e32 v14, 1, v4
	v_cmp_le_u32_e32 vcc, s16, v5
	v_cndmask_b32_e32 v4, v4, v14, vcc
	v_mov_b32_e32 v5, 0
.LBB3_21:
	s_or_b64 exec, exec, s[0:1]
	v_mul_lo_u32 v16, s17, v4
	v_mul_lo_u32 v17, s16, v5
	v_mad_u64_u32 v[14:15], s[0:1], s16, v4, 0
	v_add3_u32 v15, v15, v17, v16
	v_sub_co_u32_e32 v14, vcc, v10, v14
	v_subb_co_u32_e32 v15, vcc, v11, v15, vcc
	v_or_b32_e32 v11, s41, v15
	v_mov_b32_e32 v10, 0
	v_cmp_ne_u64_e32 vcc, 0, v[10:11]
                                        ; implicit-def: $vgpr10_vgpr11
	s_and_saveexec_b64 s[0:1], vcc
	s_xor_b64 s[2:3], exec, s[0:1]
	s_cbranch_execz .LBB3_23
; %bb.22:
	s_ashr_i32 s6, s41, 31
	s_add_u32 s0, s40, s6
	s_mov_b32 s7, s6
	s_addc_u32 s1, s41, s6
	s_xor_b64 s[12:13], s[0:1], s[6:7]
	v_cvt_f32_u32_e32 v10, s12
	v_cvt_f32_u32_e32 v11, s13
	s_sub_u32 s7, 0, s12
	s_subb_u32 s16, 0, s13
	v_ashrrev_i32_e32 v18, 31, v15
	v_madmk_f32 v10, v11, 0x4f800000, v10
	v_rcp_f32_e32 v10, v10
	v_mul_f32_e32 v10, 0x5f7ffffc, v10
	v_mul_f32_e32 v11, 0x2f800000, v10
	v_trunc_f32_e32 v11, v11
	v_madmk_f32 v10, v11, 0xcf800000, v10
	v_cvt_u32_f32_e32 v11, v11
	v_cvt_u32_f32_e32 v10, v10
	v_readfirstlane_b32 s17, v11
	v_readfirstlane_b32 s0, v10
	s_mul_i32 s1, s7, s17
	s_mul_hi_u32 s19, s7, s0
	s_mul_i32 s18, s16, s0
	s_add_i32 s1, s19, s1
	s_add_i32 s1, s1, s18
	s_mul_i32 s24, s7, s0
	s_mul_i32 s19, s0, s1
	s_mul_hi_u32 s25, s0, s24
	s_mul_hi_u32 s18, s0, s1
	s_add_u32 s19, s25, s19
	s_addc_u32 s18, 0, s18
	s_mul_hi_u32 s26, s17, s24
	s_mul_i32 s24, s17, s24
	s_add_u32 s19, s19, s24
	s_mul_hi_u32 s25, s17, s1
	s_addc_u32 s18, s18, s26
	s_addc_u32 s19, s25, 0
	s_mul_i32 s1, s17, s1
	s_add_u32 s1, s18, s1
	s_addc_u32 s18, 0, s19
	s_add_u32 s19, s0, s1
	s_cselect_b64 s[0:1], -1, 0
	s_cmp_lg_u64 s[0:1], 0
	s_addc_u32 s17, s17, s18
	s_mul_i32 s0, s7, s17
	s_mul_hi_u32 s1, s7, s19
	s_add_i32 s0, s1, s0
	s_mul_i32 s16, s16, s19
	s_add_i32 s0, s0, s16
	s_mul_i32 s7, s7, s19
	s_mul_hi_u32 s16, s17, s7
	s_mul_i32 s18, s17, s7
	s_mul_i32 s25, s19, s0
	s_mul_hi_u32 s7, s19, s7
	s_mul_hi_u32 s24, s19, s0
	s_add_u32 s7, s7, s25
	s_addc_u32 s24, 0, s24
	s_add_u32 s7, s7, s18
	s_mul_hi_u32 s1, s17, s0
	s_addc_u32 s7, s24, s16
	s_addc_u32 s1, s1, 0
	s_mul_i32 s0, s17, s0
	s_add_u32 s0, s7, s0
	s_addc_u32 s7, 0, s1
	s_add_u32 s16, s19, s0
	s_cselect_b64 s[0:1], -1, 0
	s_cmp_lg_u64 s[0:1], 0
	v_add_co_u32_e32 v10, vcc, v14, v18
	s_addc_u32 s7, s17, s7
	v_xor_b32_e32 v19, v10, v18
	v_mad_u64_u32 v[10:11], s[0:1], v19, s7, 0
	v_mul_hi_u32 v17, v19, s16
	v_addc_co_u32_e32 v16, vcc, v15, v18, vcc
	v_xor_b32_e32 v20, v16, v18
	v_add_co_u32_e32 v21, vcc, v17, v10
	v_addc_co_u32_e32 v22, vcc, 0, v11, vcc
	v_mad_u64_u32 v[10:11], s[0:1], v20, s16, 0
	v_mad_u64_u32 v[16:17], s[0:1], v20, s7, 0
	v_add_co_u32_e32 v10, vcc, v21, v10
	v_addc_co_u32_e32 v10, vcc, v22, v11, vcc
	v_addc_co_u32_e32 v11, vcc, 0, v17, vcc
	v_add_co_u32_e32 v16, vcc, v10, v16
	v_addc_co_u32_e32 v17, vcc, 0, v11, vcc
	v_mul_lo_u32 v21, s13, v16
	v_mul_lo_u32 v22, s12, v17
	v_mad_u64_u32 v[10:11], s[0:1], s12, v16, 0
	v_add3_u32 v11, v11, v22, v21
	v_sub_u32_e32 v21, v20, v11
	v_mov_b32_e32 v22, s13
	v_sub_co_u32_e32 v10, vcc, v19, v10
	v_subb_co_u32_e64 v19, s[0:1], v21, v22, vcc
	v_subrev_co_u32_e64 v21, s[0:1], s12, v10
	v_subbrev_co_u32_e64 v19, s[0:1], 0, v19, s[0:1]
	v_cmp_le_u32_e64 s[0:1], s13, v19
	v_cndmask_b32_e64 v22, 0, -1, s[0:1]
	v_cmp_le_u32_e64 s[0:1], s12, v21
	v_cndmask_b32_e64 v21, 0, -1, s[0:1]
	v_cmp_eq_u32_e64 s[0:1], s13, v19
	v_cndmask_b32_e64 v19, v22, v21, s[0:1]
	v_add_co_u32_e64 v21, s[0:1], 2, v16
	v_subb_co_u32_e32 v11, vcc, v20, v11, vcc
	v_addc_co_u32_e64 v22, s[0:1], 0, v17, s[0:1]
	v_cmp_le_u32_e32 vcc, s13, v11
	v_add_co_u32_e64 v23, s[0:1], 1, v16
	v_cndmask_b32_e64 v20, 0, -1, vcc
	v_cmp_le_u32_e32 vcc, s12, v10
	v_addc_co_u32_e64 v24, s[0:1], 0, v17, s[0:1]
	v_cndmask_b32_e64 v10, 0, -1, vcc
	v_cmp_eq_u32_e32 vcc, s13, v11
	v_cmp_ne_u32_e64 s[0:1], 0, v19
	v_cndmask_b32_e32 v10, v20, v10, vcc
	v_cndmask_b32_e64 v19, v24, v22, s[0:1]
	v_cmp_ne_u32_e32 vcc, 0, v10
	v_cndmask_b32_e64 v11, v23, v21, s[0:1]
	v_cndmask_b32_e32 v10, v17, v19, vcc
	v_cndmask_b32_e32 v11, v16, v11, vcc
	v_xor_b32_e32 v16, s6, v18
	v_xor_b32_e32 v17, v10, v16
	;; [unrolled: 1-line block ×3, first 2 shown]
	v_sub_co_u32_e32 v10, vcc, v10, v16
	v_subb_co_u32_e32 v11, vcc, v17, v16, vcc
.LBB3_23:
	s_andn2_saveexec_b64 s[0:1], s[2:3]
	s_cbranch_execz .LBB3_25
; %bb.24:
	v_cvt_f32_u32_e32 v10, s40
	s_sub_i32 s2, 0, s40
	v_rcp_iflag_f32_e32 v10, v10
	v_mul_f32_e32 v10, 0x4f7ffffe, v10
	v_cvt_u32_f32_e32 v10, v10
	v_mul_lo_u32 v11, s2, v10
	v_mul_hi_u32 v11, v10, v11
	v_add_u32_e32 v10, v10, v11
	v_mul_hi_u32 v10, v14, v10
	v_mul_lo_u32 v11, v10, s40
	v_add_u32_e32 v16, 1, v10
	v_sub_u32_e32 v11, v14, v11
	v_subrev_u32_e32 v17, s40, v11
	v_cmp_le_u32_e32 vcc, s40, v11
	v_cndmask_b32_e32 v11, v11, v17, vcc
	v_cndmask_b32_e32 v10, v10, v16, vcc
	v_add_u32_e32 v16, 1, v10
	v_cmp_le_u32_e32 vcc, s40, v11
	v_cndmask_b32_e32 v10, v10, v16, vcc
	v_mov_b32_e32 v11, 0
.LBB3_25:
	s_or_b64 exec, exec, s[0:1]
	v_mul_lo_u32 v18, v7, s14
	v_mul_lo_u32 v19, v6, s15
	v_mad_u64_u32 v[16:17], s[0:1], v6, s14, 0
	v_mul_lo_u32 v7, v7, s22
	v_mul_lo_u32 v3, v3, s36
	v_add3_u32 v17, v17, v19, v18
	v_sub_co_u32_e32 v12, vcc, v12, v16
	v_subb_co_u32_e32 v13, vcc, v13, v17, vcc
	v_ashrrev_i32_e32 v16, 31, v13
	v_lshrrev_b32_e32 v16, 27, v16
	v_add_co_u32_e32 v12, vcc, v12, v16
	v_addc_co_u32_e32 v13, vcc, 0, v13, vcc
	v_ashrrev_i64 v[12:13], 5, v[12:13]
	v_mov_b32_e32 v16, s8
	v_mov_b32_e32 v17, s9
	v_mul_lo_u32 v18, v12, s21
	v_mul_lo_u32 v19, v13, s20
	v_mad_u64_u32 v[12:13], s[0:1], v12, s20, v[16:17]
	v_mul_lo_u32 v1, v1, s38
	v_mul_lo_u32 v16, v11, s40
	v_add3_u32 v13, v19, v13, v18
	v_mad_u64_u32 v[12:13], s[0:1], v6, s22, v[12:13]
	v_mul_lo_u32 v6, v6, s23
	v_mul_lo_u32 v17, v10, s41
	;; [unrolled: 1-line block ×4, first 2 shown]
	v_add3_u32 v13, v7, v13, v6
	v_mad_u64_u32 v[6:7], s[0:1], v2, s36, v[12:13]
	v_mul_lo_u32 v2, v2, s37
	v_add3_u32 v7, v3, v7, v2
	v_mad_u64_u32 v[2:3], s[0:1], v0, s38, v[6:7]
	v_mul_lo_u32 v0, v0, s39
	v_mov_b32_e32 v6, s10
	v_mov_b32_e32 v7, s11
	v_add3_u32 v3, v1, v3, v0
	global_load_ushort v12, v[2:3], off
	global_load_ubyte v13, v[2:3], off offset:2
	v_mad_u64_u32 v[0:1], s[0:1], v10, s40, 0
	v_add3_u32 v1, v1, v17, v16
	v_sub_co_u32_e32 v0, vcc, v14, v0
	v_subb_co_u32_e32 v14, vcc, v15, v1, vcc
	v_mul_lo_u32 v15, v0, s47
	v_mad_u64_u32 v[0:1], s[0:1], v0, s46, v[6:7]
	v_mul_lo_u32 v6, v14, s46
	v_mul_lo_u32 v7, v10, s49
	v_add3_u32 v1, v6, v1, v15
	v_mad_u64_u32 v[0:1], s[0:1], v10, s48, v[0:1]
	s_load_dwordx2 s[0:1], s[4:5], 0x80
	v_mul_lo_u32 v6, v4, s51
	v_add3_u32 v1, v11, v1, v7
	v_mad_u64_u32 v[0:1], s[2:3], v4, s50, v[0:1]
	s_waitcnt lgkmcnt(0)
	v_mul_lo_u32 v4, v8, s1
	v_mul_lo_u32 v7, v9, s0
	v_add3_u32 v1, v5, v1, v6
	v_mad_u64_u32 v[0:1], s[0:1], v8, s0, v[0:1]
	v_add3_u32 v1, v7, v1, v4
	s_waitcnt vmcnt(1)
	v_cvt_f32_f16_e32 v5, v12
	s_waitcnt vmcnt(0)
	v_and_b32_e32 v6, 15, v13
	v_lshrrev_b32_e32 v8, 4, v13
	v_add_u32_e32 v6, -8, v6
	v_add_u32_e32 v8, -8, v8
	v_cvt_f32_i32_e32 v6, v6
	v_cvt_f32_i32_e32 v8, v8
	v_mul_f32_e32 v4, v5, v6
	v_mul_f32_e32 v5, v5, v8
	global_store_dword v[0:1], v4, off
	global_store_dword v[0:1], v5, off offset:64
	global_load_ushort v4, v[2:3], off
	s_nop 0
	global_load_ubyte v5, v[2:3], off offset:3
	s_waitcnt vmcnt(1)
	v_cvt_f32_f16_e32 v4, v4
	s_waitcnt vmcnt(0)
	v_and_b32_e32 v6, 15, v5
	v_lshrrev_b32_e32 v5, 4, v5
	v_add_u32_e32 v6, -8, v6
	v_add_u32_e32 v5, -8, v5
	v_cvt_f32_i32_e32 v6, v6
	v_cvt_f32_i32_e32 v5, v5
	v_mul_f32_e32 v6, v4, v6
	v_mul_f32_e32 v4, v4, v5
	global_store_dword v[0:1], v6, off offset:4
	global_store_dword v[0:1], v4, off offset:68
	global_load_ushort v4, v[2:3], off
	s_nop 0
	global_load_ubyte v5, v[2:3], off offset:4
	s_waitcnt vmcnt(1)
	v_cvt_f32_f16_e32 v4, v4
	s_waitcnt vmcnt(0)
	v_and_b32_e32 v6, 15, v5
	v_lshrrev_b32_e32 v5, 4, v5
	v_add_u32_e32 v6, -8, v6
	v_add_u32_e32 v5, -8, v5
	v_cvt_f32_i32_e32 v6, v6
	v_cvt_f32_i32_e32 v5, v5
	v_mul_f32_e32 v6, v4, v6
	v_mul_f32_e32 v4, v4, v5
	global_store_dword v[0:1], v6, off offset:8
	;; [unrolled: 16-line block ×15, first 2 shown]
	global_store_dword v[0:1], v2, off offset:124
.LBB3_26:
	s_endpgm
	.section	.rodata,"a",@progbits
	.p2align	6, 0x0
	.amdhsa_kernel _ZL9cpy_q_f32IXadL_ZL14cpy_blck_q_f32IXadL_ZL15dequantize_q4_0PKvliR15HIP_vector_typeIfLj2EEEELi32EEvPKcPcEELi32EEvS7_S8_lllllllllllllll
		.amdhsa_group_segment_fixed_size 0
		.amdhsa_private_segment_fixed_size 0
		.amdhsa_kernarg_size 392
		.amdhsa_user_sgpr_count 6
		.amdhsa_user_sgpr_private_segment_buffer 1
		.amdhsa_user_sgpr_dispatch_ptr 0
		.amdhsa_user_sgpr_queue_ptr 0
		.amdhsa_user_sgpr_kernarg_segment_ptr 1
		.amdhsa_user_sgpr_dispatch_id 0
		.amdhsa_user_sgpr_flat_scratch_init 0
		.amdhsa_user_sgpr_private_segment_size 0
		.amdhsa_uses_dynamic_stack 0
		.amdhsa_system_sgpr_private_segment_wavefront_offset 0
		.amdhsa_system_sgpr_workgroup_id_x 1
		.amdhsa_system_sgpr_workgroup_id_y 0
		.amdhsa_system_sgpr_workgroup_id_z 0
		.amdhsa_system_sgpr_workgroup_info 0
		.amdhsa_system_vgpr_workitem_id 0
		.amdhsa_next_free_vgpr 25
		.amdhsa_next_free_sgpr 52
		.amdhsa_reserve_vcc 1
		.amdhsa_reserve_flat_scratch 0
		.amdhsa_float_round_mode_32 0
		.amdhsa_float_round_mode_16_64 0
		.amdhsa_float_denorm_mode_32 3
		.amdhsa_float_denorm_mode_16_64 3
		.amdhsa_dx10_clamp 1
		.amdhsa_ieee_mode 1
		.amdhsa_fp16_overflow 0
		.amdhsa_exception_fp_ieee_invalid_op 0
		.amdhsa_exception_fp_denorm_src 0
		.amdhsa_exception_fp_ieee_div_zero 0
		.amdhsa_exception_fp_ieee_overflow 0
		.amdhsa_exception_fp_ieee_underflow 0
		.amdhsa_exception_fp_ieee_inexact 0
		.amdhsa_exception_int_div_zero 0
	.end_amdhsa_kernel
	.section	.text._ZL9cpy_q_f32IXadL_ZL14cpy_blck_q_f32IXadL_ZL15dequantize_q4_0PKvliR15HIP_vector_typeIfLj2EEEELi32EEvPKcPcEELi32EEvS7_S8_lllllllllllllll,"axG",@progbits,_ZL9cpy_q_f32IXadL_ZL14cpy_blck_q_f32IXadL_ZL15dequantize_q4_0PKvliR15HIP_vector_typeIfLj2EEEELi32EEvPKcPcEELi32EEvS7_S8_lllllllllllllll,comdat
.Lfunc_end3:
	.size	_ZL9cpy_q_f32IXadL_ZL14cpy_blck_q_f32IXadL_ZL15dequantize_q4_0PKvliR15HIP_vector_typeIfLj2EEEELi32EEvPKcPcEELi32EEvS7_S8_lllllllllllllll, .Lfunc_end3-_ZL9cpy_q_f32IXadL_ZL14cpy_blck_q_f32IXadL_ZL15dequantize_q4_0PKvliR15HIP_vector_typeIfLj2EEEELi32EEvPKcPcEELi32EEvS7_S8_lllllllllllllll
                                        ; -- End function
	.set _ZL9cpy_q_f32IXadL_ZL14cpy_blck_q_f32IXadL_ZL15dequantize_q4_0PKvliR15HIP_vector_typeIfLj2EEEELi32EEvPKcPcEELi32EEvS7_S8_lllllllllllllll.num_vgpr, 25
	.set _ZL9cpy_q_f32IXadL_ZL14cpy_blck_q_f32IXadL_ZL15dequantize_q4_0PKvliR15HIP_vector_typeIfLj2EEEELi32EEvPKcPcEELi32EEvS7_S8_lllllllllllllll.num_agpr, 0
	.set _ZL9cpy_q_f32IXadL_ZL14cpy_blck_q_f32IXadL_ZL15dequantize_q4_0PKvliR15HIP_vector_typeIfLj2EEEELi32EEvPKcPcEELi32EEvS7_S8_lllllllllllllll.numbered_sgpr, 52
	.set _ZL9cpy_q_f32IXadL_ZL14cpy_blck_q_f32IXadL_ZL15dequantize_q4_0PKvliR15HIP_vector_typeIfLj2EEEELi32EEvPKcPcEELi32EEvS7_S8_lllllllllllllll.num_named_barrier, 0
	.set _ZL9cpy_q_f32IXadL_ZL14cpy_blck_q_f32IXadL_ZL15dequantize_q4_0PKvliR15HIP_vector_typeIfLj2EEEELi32EEvPKcPcEELi32EEvS7_S8_lllllllllllllll.private_seg_size, 0
	.set _ZL9cpy_q_f32IXadL_ZL14cpy_blck_q_f32IXadL_ZL15dequantize_q4_0PKvliR15HIP_vector_typeIfLj2EEEELi32EEvPKcPcEELi32EEvS7_S8_lllllllllllllll.uses_vcc, 1
	.set _ZL9cpy_q_f32IXadL_ZL14cpy_blck_q_f32IXadL_ZL15dequantize_q4_0PKvliR15HIP_vector_typeIfLj2EEEELi32EEvPKcPcEELi32EEvS7_S8_lllllllllllllll.uses_flat_scratch, 0
	.set _ZL9cpy_q_f32IXadL_ZL14cpy_blck_q_f32IXadL_ZL15dequantize_q4_0PKvliR15HIP_vector_typeIfLj2EEEELi32EEvPKcPcEELi32EEvS7_S8_lllllllllllllll.has_dyn_sized_stack, 0
	.set _ZL9cpy_q_f32IXadL_ZL14cpy_blck_q_f32IXadL_ZL15dequantize_q4_0PKvliR15HIP_vector_typeIfLj2EEEELi32EEvPKcPcEELi32EEvS7_S8_lllllllllllllll.has_recursion, 0
	.set _ZL9cpy_q_f32IXadL_ZL14cpy_blck_q_f32IXadL_ZL15dequantize_q4_0PKvliR15HIP_vector_typeIfLj2EEEELi32EEvPKcPcEELi32EEvS7_S8_lllllllllllllll.has_indirect_call, 0
	.section	.AMDGPU.csdata,"",@progbits
; Kernel info:
; codeLenInByte = 6484
; TotalNumSgprs: 56
; NumVgprs: 25
; ScratchSize: 0
; MemoryBound: 0
; FloatMode: 240
; IeeeMode: 1
; LDSByteSize: 0 bytes/workgroup (compile time only)
; SGPRBlocks: 6
; VGPRBlocks: 6
; NumSGPRsForWavesPerEU: 56
; NumVGPRsForWavesPerEU: 25
; Occupancy: 9
; WaveLimiterHint : 0
; COMPUTE_PGM_RSRC2:SCRATCH_EN: 0
; COMPUTE_PGM_RSRC2:USER_SGPR: 6
; COMPUTE_PGM_RSRC2:TRAP_HANDLER: 0
; COMPUTE_PGM_RSRC2:TGID_X_EN: 1
; COMPUTE_PGM_RSRC2:TGID_Y_EN: 0
; COMPUTE_PGM_RSRC2:TGID_Z_EN: 0
; COMPUTE_PGM_RSRC2:TIDIG_COMP_CNT: 0
	.section	.text._ZL9cpy_f32_qIXadL_ZL17cpy_blck_f32_q4_1PKcPcEELi32EEvS1_S2_lllllllllllllll,"axG",@progbits,_ZL9cpy_f32_qIXadL_ZL17cpy_blck_f32_q4_1PKcPcEELi32EEvS1_S2_lllllllllllllll,comdat
	.globl	_ZL9cpy_f32_qIXadL_ZL17cpy_blck_f32_q4_1PKcPcEELi32EEvS1_S2_lllllllllllllll ; -- Begin function _ZL9cpy_f32_qIXadL_ZL17cpy_blck_f32_q4_1PKcPcEELi32EEvS1_S2_lllllllllllllll
	.p2align	8
	.type	_ZL9cpy_f32_qIXadL_ZL17cpy_blck_f32_q4_1PKcPcEELi32EEvS1_S2_lllllllllllllll,@function
_ZL9cpy_f32_qIXadL_ZL17cpy_blck_f32_q4_1PKcPcEELi32EEvS1_S2_lllllllllllllll: ; @_ZL9cpy_f32_qIXadL_ZL17cpy_blck_f32_q4_1PKcPcEELi32EEvS1_S2_lllllllllllllll
; %bb.0:
	s_load_dword s0, s[4:5], 0x94
	v_mov_b32_e32 v2, 0
	v_mov_b32_e32 v1, v2
	;; [unrolled: 1-line block ×3, first 2 shown]
	s_load_dwordx16 s[8:23], s[4:5], 0x0
	s_waitcnt lgkmcnt(0)
	s_and_b32 s0, s0, 0xffff
	v_mad_u64_u32 v[0:1], s[0:1], s0, v3, v[0:1]
	v_lshlrev_b64 v[4:5], 5, v[0:1]
	v_cmp_gt_i64_e32 vcc, s[12:13], v[4:5]
	s_and_saveexec_b64 s[0:1], vcc
	s_cbranch_execz .LBB4_26
; %bb.1:
	s_mul_i32 s0, s16, s15
	s_mul_hi_u32 s1, s16, s14
	s_add_i32 s0, s1, s0
	s_mul_i32 s1, s17, s14
	s_mul_i32 s16, s16, s14
	s_add_i32 s17, s0, s1
	s_mul_i32 s0, s16, s19
	s_mul_hi_u32 s1, s16, s18
	s_add_i32 s0, s1, s0
	s_mul_i32 s1, s17, s18
	s_add_i32 s19, s0, s1
	v_or_b32_e32 v3, s19, v5
	v_cmp_ne_u64_e32 vcc, 0, v[2:3]
	s_mul_i32 s18, s16, s18
	v_ashrrev_i32_e32 v10, 31, v5
                                        ; implicit-def: $vgpr0_vgpr1
	s_and_saveexec_b64 s[0:1], vcc
	s_xor_b64 s[2:3], exec, s[0:1]
	s_cbranch_execz .LBB4_3
; %bb.2:
	s_ashr_i32 s6, s19, 31
	s_add_u32 s0, s18, s6
	s_mov_b32 s7, s6
	s_addc_u32 s1, s19, s6
	s_xor_b64 s[12:13], s[0:1], s[6:7]
	v_cvt_f32_u32_e32 v0, s12
	v_cvt_f32_u32_e32 v1, s13
	s_sub_u32 s7, 0, s12
	s_subb_u32 s24, 0, s13
	v_madmk_f32 v0, v1, 0x4f800000, v0
	v_rcp_f32_e32 v0, v0
	v_mul_f32_e32 v0, 0x5f7ffffc, v0
	v_mul_f32_e32 v1, 0x2f800000, v0
	v_trunc_f32_e32 v1, v1
	v_madmk_f32 v0, v1, 0xcf800000, v0
	v_cvt_u32_f32_e32 v1, v1
	v_cvt_u32_f32_e32 v0, v0
	v_readfirstlane_b32 s25, v1
	v_readfirstlane_b32 s0, v0
	s_mul_i32 s1, s7, s25
	s_mul_hi_u32 s27, s7, s0
	s_mul_i32 s26, s24, s0
	s_add_i32 s1, s27, s1
	s_add_i32 s1, s1, s26
	s_mul_i32 s28, s7, s0
	s_mul_i32 s27, s0, s1
	s_mul_hi_u32 s29, s0, s28
	s_mul_hi_u32 s26, s0, s1
	s_add_u32 s27, s29, s27
	s_addc_u32 s26, 0, s26
	s_mul_hi_u32 s30, s25, s28
	s_mul_i32 s28, s25, s28
	s_add_u32 s27, s27, s28
	s_mul_hi_u32 s29, s25, s1
	s_addc_u32 s26, s26, s30
	s_addc_u32 s27, s29, 0
	s_mul_i32 s1, s25, s1
	s_add_u32 s1, s26, s1
	s_addc_u32 s26, 0, s27
	s_add_u32 s27, s0, s1
	s_cselect_b64 s[0:1], -1, 0
	s_cmp_lg_u64 s[0:1], 0
	s_addc_u32 s25, s25, s26
	s_mul_i32 s0, s7, s25
	s_mul_hi_u32 s1, s7, s27
	s_add_i32 s0, s1, s0
	s_mul_i32 s24, s24, s27
	s_add_i32 s0, s0, s24
	s_mul_i32 s7, s7, s27
	s_mul_hi_u32 s24, s25, s7
	s_mul_i32 s26, s25, s7
	s_mul_i32 s29, s27, s0
	s_mul_hi_u32 s7, s27, s7
	s_mul_hi_u32 s28, s27, s0
	s_add_u32 s7, s7, s29
	s_addc_u32 s28, 0, s28
	s_add_u32 s7, s7, s26
	s_mul_hi_u32 s1, s25, s0
	s_addc_u32 s7, s28, s24
	s_addc_u32 s1, s1, 0
	s_mul_i32 s0, s25, s0
	s_add_u32 s0, s7, s0
	s_addc_u32 s7, 0, s1
	s_add_u32 s24, s27, s0
	s_cselect_b64 s[0:1], -1, 0
	s_cmp_lg_u64 s[0:1], 0
	v_add_co_u32_e32 v0, vcc, v4, v10
	s_addc_u32 s7, s25, s7
	v_xor_b32_e32 v6, v0, v10
	v_mad_u64_u32 v[0:1], s[0:1], v6, s7, 0
	v_mul_hi_u32 v3, v6, s24
	v_addc_co_u32_e32 v2, vcc, v5, v10, vcc
	v_xor_b32_e32 v7, v2, v10
	v_add_co_u32_e32 v8, vcc, v3, v0
	v_addc_co_u32_e32 v9, vcc, 0, v1, vcc
	v_mad_u64_u32 v[0:1], s[0:1], v7, s24, 0
	v_mad_u64_u32 v[2:3], s[0:1], v7, s7, 0
	v_add_co_u32_e32 v0, vcc, v8, v0
	v_addc_co_u32_e32 v0, vcc, v9, v1, vcc
	v_addc_co_u32_e32 v1, vcc, 0, v3, vcc
	v_add_co_u32_e32 v2, vcc, v0, v2
	v_addc_co_u32_e32 v3, vcc, 0, v1, vcc
	v_mul_lo_u32 v8, s13, v2
	v_mul_lo_u32 v9, s12, v3
	v_mad_u64_u32 v[0:1], s[0:1], s12, v2, 0
	v_add3_u32 v1, v1, v9, v8
	v_sub_u32_e32 v8, v7, v1
	v_mov_b32_e32 v9, s13
	v_sub_co_u32_e32 v0, vcc, v6, v0
	v_subb_co_u32_e64 v6, s[0:1], v8, v9, vcc
	v_subrev_co_u32_e64 v8, s[0:1], s12, v0
	v_subbrev_co_u32_e64 v6, s[0:1], 0, v6, s[0:1]
	v_cmp_le_u32_e64 s[0:1], s13, v6
	v_cndmask_b32_e64 v9, 0, -1, s[0:1]
	v_cmp_le_u32_e64 s[0:1], s12, v8
	v_cndmask_b32_e64 v8, 0, -1, s[0:1]
	v_cmp_eq_u32_e64 s[0:1], s13, v6
	v_cndmask_b32_e64 v6, v9, v8, s[0:1]
	v_add_co_u32_e64 v8, s[0:1], 2, v2
	v_subb_co_u32_e32 v1, vcc, v7, v1, vcc
	v_addc_co_u32_e64 v9, s[0:1], 0, v3, s[0:1]
	v_cmp_le_u32_e32 vcc, s13, v1
	v_add_co_u32_e64 v11, s[0:1], 1, v2
	v_cndmask_b32_e64 v7, 0, -1, vcc
	v_cmp_le_u32_e32 vcc, s12, v0
	v_addc_co_u32_e64 v12, s[0:1], 0, v3, s[0:1]
	v_cndmask_b32_e64 v0, 0, -1, vcc
	v_cmp_eq_u32_e32 vcc, s13, v1
	v_cmp_ne_u32_e64 s[0:1], 0, v6
	v_cndmask_b32_e32 v0, v7, v0, vcc
	v_cndmask_b32_e64 v6, v12, v9, s[0:1]
	v_cmp_ne_u32_e32 vcc, 0, v0
	v_cndmask_b32_e64 v1, v11, v8, s[0:1]
	v_cndmask_b32_e32 v0, v3, v6, vcc
	v_cndmask_b32_e32 v1, v2, v1, vcc
	v_xor_b32_e32 v2, s6, v10
	v_xor_b32_e32 v3, v0, v2
	;; [unrolled: 1-line block ×3, first 2 shown]
	v_sub_co_u32_e32 v0, vcc, v0, v2
	v_subb_co_u32_e32 v1, vcc, v3, v2, vcc
.LBB4_3:
	s_andn2_saveexec_b64 s[0:1], s[2:3]
	s_cbranch_execz .LBB4_5
; %bb.4:
	v_cvt_f32_u32_e32 v0, s18
	s_sub_i32 s2, 0, s18
	v_rcp_iflag_f32_e32 v0, v0
	v_mul_f32_e32 v0, 0x4f7ffffe, v0
	v_cvt_u32_f32_e32 v0, v0
	v_mul_lo_u32 v1, s2, v0
	v_mul_hi_u32 v1, v0, v1
	v_add_u32_e32 v0, v0, v1
	v_mul_hi_u32 v0, v4, v0
	v_mul_lo_u32 v1, v0, s18
	v_add_u32_e32 v2, 1, v0
	v_sub_u32_e32 v1, v4, v1
	v_subrev_u32_e32 v3, s18, v1
	v_cmp_le_u32_e32 vcc, s18, v1
	v_cndmask_b32_e32 v1, v1, v3, vcc
	v_cndmask_b32_e32 v0, v0, v2, vcc
	v_add_u32_e32 v2, 1, v0
	v_cmp_le_u32_e32 vcc, s18, v1
	v_cndmask_b32_e32 v0, v0, v2, vcc
	v_mov_b32_e32 v1, 0
.LBB4_5:
	s_or_b64 exec, exec, s[0:1]
	v_mul_lo_u32 v6, s19, v0
	v_mul_lo_u32 v7, s18, v1
	v_mad_u64_u32 v[2:3], s[0:1], s18, v0, 0
	v_add3_u32 v3, v3, v7, v6
	v_sub_co_u32_e32 v6, vcc, v4, v2
	v_subb_co_u32_e32 v7, vcc, v5, v3, vcc
	v_or_b32_e32 v3, s17, v7
	v_mov_b32_e32 v2, 0
	v_cmp_ne_u64_e32 vcc, 0, v[2:3]
                                        ; implicit-def: $vgpr2_vgpr3
	s_and_saveexec_b64 s[0:1], vcc
	s_xor_b64 s[2:3], exec, s[0:1]
	s_cbranch_execz .LBB4_7
; %bb.6:
	s_ashr_i32 s6, s17, 31
	s_add_u32 s0, s16, s6
	s_mov_b32 s7, s6
	s_addc_u32 s1, s17, s6
	s_xor_b64 s[12:13], s[0:1], s[6:7]
	v_cvt_f32_u32_e32 v2, s12
	v_cvt_f32_u32_e32 v3, s13
	s_sub_u32 s7, 0, s12
	s_subb_u32 s18, 0, s13
	v_ashrrev_i32_e32 v11, 31, v7
	v_madmk_f32 v2, v3, 0x4f800000, v2
	v_rcp_f32_e32 v2, v2
	v_mul_f32_e32 v2, 0x5f7ffffc, v2
	v_mul_f32_e32 v3, 0x2f800000, v2
	v_trunc_f32_e32 v3, v3
	v_madmk_f32 v2, v3, 0xcf800000, v2
	v_cvt_u32_f32_e32 v3, v3
	v_cvt_u32_f32_e32 v2, v2
	v_readfirstlane_b32 s19, v3
	v_readfirstlane_b32 s0, v2
	s_mul_i32 s1, s7, s19
	s_mul_hi_u32 s25, s7, s0
	s_mul_i32 s24, s18, s0
	s_add_i32 s1, s25, s1
	s_add_i32 s1, s1, s24
	s_mul_i32 s26, s7, s0
	s_mul_i32 s25, s0, s1
	s_mul_hi_u32 s27, s0, s26
	s_mul_hi_u32 s24, s0, s1
	s_add_u32 s25, s27, s25
	s_addc_u32 s24, 0, s24
	s_mul_hi_u32 s28, s19, s26
	s_mul_i32 s26, s19, s26
	s_add_u32 s25, s25, s26
	s_mul_hi_u32 s27, s19, s1
	s_addc_u32 s24, s24, s28
	s_addc_u32 s25, s27, 0
	s_mul_i32 s1, s19, s1
	s_add_u32 s1, s24, s1
	s_addc_u32 s24, 0, s25
	s_add_u32 s25, s0, s1
	s_cselect_b64 s[0:1], -1, 0
	s_cmp_lg_u64 s[0:1], 0
	s_addc_u32 s19, s19, s24
	s_mul_i32 s0, s7, s19
	s_mul_hi_u32 s1, s7, s25
	s_add_i32 s0, s1, s0
	s_mul_i32 s18, s18, s25
	s_add_i32 s0, s0, s18
	s_mul_i32 s7, s7, s25
	s_mul_hi_u32 s18, s19, s7
	s_mul_i32 s24, s19, s7
	s_mul_i32 s27, s25, s0
	s_mul_hi_u32 s7, s25, s7
	s_mul_hi_u32 s26, s25, s0
	s_add_u32 s7, s7, s27
	s_addc_u32 s26, 0, s26
	s_add_u32 s7, s7, s24
	s_mul_hi_u32 s1, s19, s0
	s_addc_u32 s7, s26, s18
	s_addc_u32 s1, s1, 0
	s_mul_i32 s0, s19, s0
	s_add_u32 s0, s7, s0
	s_addc_u32 s7, 0, s1
	s_add_u32 s18, s25, s0
	s_cselect_b64 s[0:1], -1, 0
	s_cmp_lg_u64 s[0:1], 0
	v_add_co_u32_e32 v2, vcc, v6, v11
	s_addc_u32 s7, s19, s7
	v_xor_b32_e32 v12, v2, v11
	v_mad_u64_u32 v[2:3], s[0:1], v12, s7, 0
	v_mul_hi_u32 v9, v12, s18
	v_addc_co_u32_e32 v8, vcc, v7, v11, vcc
	v_xor_b32_e32 v13, v8, v11
	v_add_co_u32_e32 v14, vcc, v9, v2
	v_addc_co_u32_e32 v15, vcc, 0, v3, vcc
	v_mad_u64_u32 v[2:3], s[0:1], v13, s18, 0
	v_mad_u64_u32 v[8:9], s[0:1], v13, s7, 0
	v_add_co_u32_e32 v2, vcc, v14, v2
	v_addc_co_u32_e32 v2, vcc, v15, v3, vcc
	v_addc_co_u32_e32 v3, vcc, 0, v9, vcc
	v_add_co_u32_e32 v8, vcc, v2, v8
	v_addc_co_u32_e32 v9, vcc, 0, v3, vcc
	v_mul_lo_u32 v14, s13, v8
	v_mul_lo_u32 v15, s12, v9
	v_mad_u64_u32 v[2:3], s[0:1], s12, v8, 0
	v_add3_u32 v3, v3, v15, v14
	v_sub_u32_e32 v14, v13, v3
	v_mov_b32_e32 v15, s13
	v_sub_co_u32_e32 v2, vcc, v12, v2
	v_subb_co_u32_e64 v12, s[0:1], v14, v15, vcc
	v_subrev_co_u32_e64 v14, s[0:1], s12, v2
	v_subbrev_co_u32_e64 v12, s[0:1], 0, v12, s[0:1]
	v_cmp_le_u32_e64 s[0:1], s13, v12
	v_cndmask_b32_e64 v15, 0, -1, s[0:1]
	v_cmp_le_u32_e64 s[0:1], s12, v14
	v_cndmask_b32_e64 v14, 0, -1, s[0:1]
	v_cmp_eq_u32_e64 s[0:1], s13, v12
	v_cndmask_b32_e64 v12, v15, v14, s[0:1]
	v_add_co_u32_e64 v14, s[0:1], 2, v8
	v_subb_co_u32_e32 v3, vcc, v13, v3, vcc
	v_addc_co_u32_e64 v15, s[0:1], 0, v9, s[0:1]
	v_cmp_le_u32_e32 vcc, s13, v3
	v_add_co_u32_e64 v16, s[0:1], 1, v8
	v_cndmask_b32_e64 v13, 0, -1, vcc
	v_cmp_le_u32_e32 vcc, s12, v2
	v_addc_co_u32_e64 v17, s[0:1], 0, v9, s[0:1]
	v_cndmask_b32_e64 v2, 0, -1, vcc
	v_cmp_eq_u32_e32 vcc, s13, v3
	v_cmp_ne_u32_e64 s[0:1], 0, v12
	v_cndmask_b32_e32 v2, v13, v2, vcc
	v_cndmask_b32_e64 v12, v17, v15, s[0:1]
	v_cmp_ne_u32_e32 vcc, 0, v2
	v_cndmask_b32_e64 v3, v16, v14, s[0:1]
	v_cndmask_b32_e32 v2, v9, v12, vcc
	v_cndmask_b32_e32 v3, v8, v3, vcc
	v_xor_b32_e32 v8, s6, v11
	v_xor_b32_e32 v9, v2, v8
	;; [unrolled: 1-line block ×3, first 2 shown]
	v_sub_co_u32_e32 v2, vcc, v2, v8
	v_subb_co_u32_e32 v3, vcc, v9, v8, vcc
.LBB4_7:
	s_andn2_saveexec_b64 s[0:1], s[2:3]
	s_cbranch_execz .LBB4_9
; %bb.8:
	v_cvt_f32_u32_e32 v2, s16
	s_sub_i32 s2, 0, s16
	v_rcp_iflag_f32_e32 v2, v2
	v_mul_f32_e32 v2, 0x4f7ffffe, v2
	v_cvt_u32_f32_e32 v2, v2
	v_mul_lo_u32 v3, s2, v2
	v_mul_hi_u32 v3, v2, v3
	v_add_u32_e32 v2, v2, v3
	v_mul_hi_u32 v2, v6, v2
	v_mul_lo_u32 v3, v2, s16
	v_add_u32_e32 v8, 1, v2
	v_sub_u32_e32 v3, v6, v3
	v_subrev_u32_e32 v9, s16, v3
	v_cmp_le_u32_e32 vcc, s16, v3
	v_cndmask_b32_e32 v3, v3, v9, vcc
	v_cndmask_b32_e32 v2, v2, v8, vcc
	v_add_u32_e32 v8, 1, v2
	v_cmp_le_u32_e32 vcc, s16, v3
	v_cndmask_b32_e32 v2, v2, v8, vcc
	v_mov_b32_e32 v3, 0
.LBB4_9:
	s_or_b64 exec, exec, s[0:1]
	v_mul_lo_u32 v11, s17, v2
	v_mul_lo_u32 v12, s16, v3
	v_mad_u64_u32 v[8:9], s[0:1], s16, v2, 0
	v_add3_u32 v9, v9, v12, v11
	v_sub_co_u32_e32 v8, vcc, v6, v8
	v_subb_co_u32_e32 v9, vcc, v7, v9, vcc
	v_or_b32_e32 v7, s15, v9
	v_mov_b32_e32 v6, 0
	v_cmp_ne_u64_e32 vcc, 0, v[6:7]
                                        ; implicit-def: $vgpr6_vgpr7
	s_and_saveexec_b64 s[0:1], vcc
	s_xor_b64 s[2:3], exec, s[0:1]
	s_cbranch_execz .LBB4_11
; %bb.10:
	s_ashr_i32 s6, s15, 31
	s_add_u32 s0, s14, s6
	s_mov_b32 s7, s6
	s_addc_u32 s1, s15, s6
	s_xor_b64 s[12:13], s[0:1], s[6:7]
	v_cvt_f32_u32_e32 v6, s12
	v_cvt_f32_u32_e32 v7, s13
	s_sub_u32 s7, 0, s12
	s_subb_u32 s16, 0, s13
	v_ashrrev_i32_e32 v13, 31, v9
	v_madmk_f32 v6, v7, 0x4f800000, v6
	v_rcp_f32_e32 v6, v6
	v_mul_f32_e32 v6, 0x5f7ffffc, v6
	v_mul_f32_e32 v7, 0x2f800000, v6
	v_trunc_f32_e32 v7, v7
	v_madmk_f32 v6, v7, 0xcf800000, v6
	v_cvt_u32_f32_e32 v7, v7
	v_cvt_u32_f32_e32 v6, v6
	v_readfirstlane_b32 s17, v7
	v_readfirstlane_b32 s0, v6
	s_mul_i32 s1, s7, s17
	s_mul_hi_u32 s19, s7, s0
	s_mul_i32 s18, s16, s0
	s_add_i32 s1, s19, s1
	s_add_i32 s1, s1, s18
	s_mul_i32 s24, s7, s0
	s_mul_i32 s19, s0, s1
	s_mul_hi_u32 s25, s0, s24
	s_mul_hi_u32 s18, s0, s1
	s_add_u32 s19, s25, s19
	s_addc_u32 s18, 0, s18
	s_mul_hi_u32 s26, s17, s24
	s_mul_i32 s24, s17, s24
	s_add_u32 s19, s19, s24
	s_mul_hi_u32 s25, s17, s1
	s_addc_u32 s18, s18, s26
	s_addc_u32 s19, s25, 0
	s_mul_i32 s1, s17, s1
	s_add_u32 s1, s18, s1
	s_addc_u32 s18, 0, s19
	s_add_u32 s19, s0, s1
	s_cselect_b64 s[0:1], -1, 0
	s_cmp_lg_u64 s[0:1], 0
	s_addc_u32 s17, s17, s18
	s_mul_i32 s0, s7, s17
	s_mul_hi_u32 s1, s7, s19
	s_add_i32 s0, s1, s0
	s_mul_i32 s16, s16, s19
	s_add_i32 s0, s0, s16
	s_mul_i32 s7, s7, s19
	s_mul_hi_u32 s16, s17, s7
	s_mul_i32 s18, s17, s7
	s_mul_i32 s25, s19, s0
	s_mul_hi_u32 s7, s19, s7
	s_mul_hi_u32 s24, s19, s0
	s_add_u32 s7, s7, s25
	s_addc_u32 s24, 0, s24
	s_add_u32 s7, s7, s18
	s_mul_hi_u32 s1, s17, s0
	s_addc_u32 s7, s24, s16
	s_addc_u32 s1, s1, 0
	s_mul_i32 s0, s17, s0
	s_add_u32 s0, s7, s0
	s_addc_u32 s7, 0, s1
	s_add_u32 s16, s19, s0
	s_cselect_b64 s[0:1], -1, 0
	s_cmp_lg_u64 s[0:1], 0
	v_add_co_u32_e32 v6, vcc, v8, v13
	s_addc_u32 s7, s17, s7
	v_xor_b32_e32 v14, v6, v13
	v_mad_u64_u32 v[6:7], s[0:1], v14, s7, 0
	v_mul_hi_u32 v12, v14, s16
	v_addc_co_u32_e32 v11, vcc, v9, v13, vcc
	v_xor_b32_e32 v15, v11, v13
	v_add_co_u32_e32 v16, vcc, v12, v6
	v_addc_co_u32_e32 v17, vcc, 0, v7, vcc
	v_mad_u64_u32 v[6:7], s[0:1], v15, s16, 0
	v_mad_u64_u32 v[11:12], s[0:1], v15, s7, 0
	v_add_co_u32_e32 v6, vcc, v16, v6
	v_addc_co_u32_e32 v6, vcc, v17, v7, vcc
	v_addc_co_u32_e32 v7, vcc, 0, v12, vcc
	v_add_co_u32_e32 v11, vcc, v6, v11
	v_addc_co_u32_e32 v12, vcc, 0, v7, vcc
	v_mul_lo_u32 v16, s13, v11
	v_mul_lo_u32 v17, s12, v12
	v_mad_u64_u32 v[6:7], s[0:1], s12, v11, 0
	v_add3_u32 v7, v7, v17, v16
	v_sub_u32_e32 v16, v15, v7
	v_mov_b32_e32 v17, s13
	v_sub_co_u32_e32 v6, vcc, v14, v6
	v_subb_co_u32_e64 v14, s[0:1], v16, v17, vcc
	v_subrev_co_u32_e64 v16, s[0:1], s12, v6
	v_subbrev_co_u32_e64 v14, s[0:1], 0, v14, s[0:1]
	v_cmp_le_u32_e64 s[0:1], s13, v14
	v_cndmask_b32_e64 v17, 0, -1, s[0:1]
	v_cmp_le_u32_e64 s[0:1], s12, v16
	v_cndmask_b32_e64 v16, 0, -1, s[0:1]
	v_cmp_eq_u32_e64 s[0:1], s13, v14
	v_cndmask_b32_e64 v14, v17, v16, s[0:1]
	v_add_co_u32_e64 v16, s[0:1], 2, v11
	v_subb_co_u32_e32 v7, vcc, v15, v7, vcc
	v_addc_co_u32_e64 v17, s[0:1], 0, v12, s[0:1]
	v_cmp_le_u32_e32 vcc, s13, v7
	v_add_co_u32_e64 v18, s[0:1], 1, v11
	v_cndmask_b32_e64 v15, 0, -1, vcc
	v_cmp_le_u32_e32 vcc, s12, v6
	v_addc_co_u32_e64 v19, s[0:1], 0, v12, s[0:1]
	v_cndmask_b32_e64 v6, 0, -1, vcc
	v_cmp_eq_u32_e32 vcc, s13, v7
	v_cmp_ne_u32_e64 s[0:1], 0, v14
	v_cndmask_b32_e32 v6, v15, v6, vcc
	v_cndmask_b32_e64 v14, v19, v17, s[0:1]
	v_cmp_ne_u32_e32 vcc, 0, v6
	v_cndmask_b32_e64 v7, v18, v16, s[0:1]
	v_cndmask_b32_e32 v6, v12, v14, vcc
	v_cndmask_b32_e32 v7, v11, v7, vcc
	v_xor_b32_e32 v11, s6, v13
	v_xor_b32_e32 v12, v6, v11
	;; [unrolled: 1-line block ×3, first 2 shown]
	v_sub_co_u32_e32 v6, vcc, v6, v11
	v_subb_co_u32_e32 v7, vcc, v12, v11, vcc
.LBB4_11:
	s_andn2_saveexec_b64 s[0:1], s[2:3]
	s_cbranch_execz .LBB4_13
; %bb.12:
	v_cvt_f32_u32_e32 v6, s14
	s_sub_i32 s2, 0, s14
	v_rcp_iflag_f32_e32 v6, v6
	v_mul_f32_e32 v6, 0x4f7ffffe, v6
	v_cvt_u32_f32_e32 v6, v6
	v_mul_lo_u32 v7, s2, v6
	v_mul_hi_u32 v7, v6, v7
	v_add_u32_e32 v6, v6, v7
	v_mul_hi_u32 v6, v8, v6
	v_mul_lo_u32 v7, v6, s14
	v_add_u32_e32 v11, 1, v6
	v_sub_u32_e32 v7, v8, v7
	v_subrev_u32_e32 v12, s14, v7
	v_cmp_le_u32_e32 vcc, s14, v7
	v_cndmask_b32_e32 v7, v7, v12, vcc
	v_cndmask_b32_e32 v6, v6, v11, vcc
	v_add_u32_e32 v11, 1, v6
	v_cmp_le_u32_e32 vcc, s14, v7
	v_cndmask_b32_e32 v6, v6, v11, vcc
	v_mov_b32_e32 v7, 0
.LBB4_13:
	s_or_b64 exec, exec, s[0:1]
	s_load_dwordx16 s[36:51], s[4:5], 0x40
	v_mov_b32_e32 v11, 0
                                        ; implicit-def: $vgpr32_vgpr33
	s_waitcnt lgkmcnt(0)
	s_mul_i32 s0, s42, s41
	s_mul_hi_u32 s1, s42, s40
	s_mul_i32 s2, s43, s40
	s_mul_i32 s16, s42, s40
	s_add_i32 s17, s1, s0
	s_mul_i32 s0, s16, s45
	s_add_i32 s17, s17, s2
	s_mul_hi_u32 s1, s16, s44
	s_add_i32 s0, s1, s0
	s_mul_i32 s1, s17, s44
	s_add_i32 s18, s0, s1
	v_or_b32_e32 v12, s18, v5
	v_cmp_ne_u64_e32 vcc, 0, v[11:12]
	s_mul_i32 s19, s16, s44
	s_and_saveexec_b64 s[0:1], vcc
	s_xor_b64 s[2:3], exec, s[0:1]
	s_cbranch_execz .LBB4_15
; %bb.14:
	s_ashr_i32 s6, s18, 31
	s_add_u32 s0, s19, s6
	s_mov_b32 s7, s6
	s_addc_u32 s1, s18, s6
	s_xor_b64 s[12:13], s[0:1], s[6:7]
	v_cvt_f32_u32_e32 v11, s12
	v_cvt_f32_u32_e32 v12, s13
	s_sub_u32 s7, 0, s12
	s_subb_u32 s24, 0, s13
	v_madmk_f32 v11, v12, 0x4f800000, v11
	v_rcp_f32_e32 v11, v11
	v_mul_f32_e32 v11, 0x5f7ffffc, v11
	v_mul_f32_e32 v12, 0x2f800000, v11
	v_trunc_f32_e32 v12, v12
	v_madmk_f32 v11, v12, 0xcf800000, v11
	v_cvt_u32_f32_e32 v12, v12
	v_cvt_u32_f32_e32 v11, v11
	v_readfirstlane_b32 s25, v12
	v_readfirstlane_b32 s0, v11
	s_mul_i32 s1, s7, s25
	s_mul_hi_u32 s27, s7, s0
	s_mul_i32 s26, s24, s0
	s_add_i32 s1, s27, s1
	s_add_i32 s1, s1, s26
	s_mul_i32 s28, s7, s0
	s_mul_i32 s27, s0, s1
	s_mul_hi_u32 s29, s0, s28
	s_mul_hi_u32 s26, s0, s1
	s_add_u32 s27, s29, s27
	s_addc_u32 s26, 0, s26
	s_mul_hi_u32 s30, s25, s28
	s_mul_i32 s28, s25, s28
	s_add_u32 s27, s27, s28
	s_mul_hi_u32 s29, s25, s1
	s_addc_u32 s26, s26, s30
	s_addc_u32 s27, s29, 0
	s_mul_i32 s1, s25, s1
	s_add_u32 s1, s26, s1
	s_addc_u32 s26, 0, s27
	s_add_u32 s27, s0, s1
	s_cselect_b64 s[0:1], -1, 0
	s_cmp_lg_u64 s[0:1], 0
	s_addc_u32 s25, s25, s26
	s_mul_i32 s0, s7, s25
	s_mul_hi_u32 s1, s7, s27
	s_add_i32 s0, s1, s0
	s_mul_i32 s24, s24, s27
	s_add_i32 s0, s0, s24
	s_mul_i32 s7, s7, s27
	s_mul_hi_u32 s24, s25, s7
	s_mul_i32 s26, s25, s7
	s_mul_i32 s29, s27, s0
	s_mul_hi_u32 s7, s27, s7
	s_mul_hi_u32 s28, s27, s0
	s_add_u32 s7, s7, s29
	s_addc_u32 s28, 0, s28
	s_add_u32 s7, s7, s26
	s_mul_hi_u32 s1, s25, s0
	s_addc_u32 s7, s28, s24
	s_addc_u32 s1, s1, 0
	s_mul_i32 s0, s25, s0
	s_add_u32 s0, s7, s0
	s_addc_u32 s7, 0, s1
	s_add_u32 s24, s27, s0
	s_cselect_b64 s[0:1], -1, 0
	s_cmp_lg_u64 s[0:1], 0
	v_add_co_u32_e32 v11, vcc, v4, v10
	s_addc_u32 s7, s25, s7
	v_xor_b32_e32 v15, v11, v10
	v_mad_u64_u32 v[11:12], s[0:1], v15, s7, 0
	v_mul_hi_u32 v14, v15, s24
	v_addc_co_u32_e32 v13, vcc, v5, v10, vcc
	v_xor_b32_e32 v16, v13, v10
	v_add_co_u32_e32 v17, vcc, v14, v11
	v_addc_co_u32_e32 v18, vcc, 0, v12, vcc
	v_mad_u64_u32 v[11:12], s[0:1], v16, s24, 0
	v_mad_u64_u32 v[13:14], s[0:1], v16, s7, 0
	v_add_co_u32_e32 v11, vcc, v17, v11
	v_addc_co_u32_e32 v11, vcc, v18, v12, vcc
	v_addc_co_u32_e32 v12, vcc, 0, v14, vcc
	v_add_co_u32_e32 v13, vcc, v11, v13
	v_addc_co_u32_e32 v14, vcc, 0, v12, vcc
	v_mul_lo_u32 v17, s13, v13
	v_mul_lo_u32 v18, s12, v14
	v_mad_u64_u32 v[11:12], s[0:1], s12, v13, 0
	v_xor_b32_e32 v10, s6, v10
	v_add3_u32 v12, v12, v18, v17
	v_sub_u32_e32 v17, v16, v12
	v_mov_b32_e32 v18, s13
	v_sub_co_u32_e32 v11, vcc, v15, v11
	v_subb_co_u32_e64 v15, s[0:1], v17, v18, vcc
	v_subrev_co_u32_e64 v17, s[0:1], s12, v11
	v_subbrev_co_u32_e64 v15, s[0:1], 0, v15, s[0:1]
	v_cmp_le_u32_e64 s[0:1], s13, v15
	v_cndmask_b32_e64 v18, 0, -1, s[0:1]
	v_cmp_le_u32_e64 s[0:1], s12, v17
	v_cndmask_b32_e64 v17, 0, -1, s[0:1]
	v_cmp_eq_u32_e64 s[0:1], s13, v15
	v_cndmask_b32_e64 v15, v18, v17, s[0:1]
	v_add_co_u32_e64 v17, s[0:1], 2, v13
	v_subb_co_u32_e32 v12, vcc, v16, v12, vcc
	v_addc_co_u32_e64 v18, s[0:1], 0, v14, s[0:1]
	v_cmp_le_u32_e32 vcc, s13, v12
	v_add_co_u32_e64 v19, s[0:1], 1, v13
	v_cndmask_b32_e64 v16, 0, -1, vcc
	v_cmp_le_u32_e32 vcc, s12, v11
	v_addc_co_u32_e64 v20, s[0:1], 0, v14, s[0:1]
	v_cndmask_b32_e64 v11, 0, -1, vcc
	v_cmp_eq_u32_e32 vcc, s13, v12
	v_cmp_ne_u32_e64 s[0:1], 0, v15
	v_cndmask_b32_e32 v11, v16, v11, vcc
	v_cmp_ne_u32_e32 vcc, 0, v11
	v_cndmask_b32_e64 v12, v19, v17, s[0:1]
	v_cndmask_b32_e64 v15, v20, v18, s[0:1]
	v_cndmask_b32_e32 v12, v13, v12, vcc
	v_cndmask_b32_e32 v11, v14, v15, vcc
	v_xor_b32_e32 v12, v12, v10
	v_xor_b32_e32 v11, v11, v10
	v_sub_co_u32_e32 v32, vcc, v12, v10
	v_subb_co_u32_e32 v33, vcc, v11, v10, vcc
.LBB4_15:
	s_andn2_saveexec_b64 s[0:1], s[2:3]
	s_cbranch_execz .LBB4_17
; %bb.16:
	v_cvt_f32_u32_e32 v10, s19
	s_sub_i32 s2, 0, s19
	v_mov_b32_e32 v33, 0
	v_rcp_iflag_f32_e32 v10, v10
	v_mul_f32_e32 v10, 0x4f7ffffe, v10
	v_cvt_u32_f32_e32 v10, v10
	v_mul_lo_u32 v11, s2, v10
	v_mul_hi_u32 v11, v10, v11
	v_add_u32_e32 v10, v10, v11
	v_mul_hi_u32 v10, v4, v10
	v_mul_lo_u32 v11, v10, s19
	v_add_u32_e32 v12, 1, v10
	v_sub_u32_e32 v11, v4, v11
	v_subrev_u32_e32 v13, s19, v11
	v_cmp_le_u32_e32 vcc, s19, v11
	v_cndmask_b32_e32 v11, v11, v13, vcc
	v_cndmask_b32_e32 v10, v10, v12, vcc
	v_add_u32_e32 v12, 1, v10
	v_cmp_le_u32_e32 vcc, s19, v11
	v_cndmask_b32_e32 v32, v10, v12, vcc
.LBB4_17:
	s_or_b64 exec, exec, s[0:1]
	v_mul_lo_u32 v12, s18, v32
	v_mul_lo_u32 v13, s19, v33
	v_mad_u64_u32 v[10:11], s[0:1], s19, v32, 0
                                        ; implicit-def: $vgpr34_vgpr35
	v_add3_u32 v11, v11, v13, v12
	v_sub_co_u32_e32 v4, vcc, v4, v10
	v_subb_co_u32_e32 v5, vcc, v5, v11, vcc
	v_or_b32_e32 v11, s17, v5
	v_mov_b32_e32 v10, 0
	v_cmp_ne_u64_e32 vcc, 0, v[10:11]
	s_and_saveexec_b64 s[0:1], vcc
	s_xor_b64 s[2:3], exec, s[0:1]
	s_cbranch_execz .LBB4_19
; %bb.18:
	s_ashr_i32 s6, s17, 31
	s_add_u32 s0, s16, s6
	s_mov_b32 s7, s6
	s_addc_u32 s1, s17, s6
	s_xor_b64 s[12:13], s[0:1], s[6:7]
	v_cvt_f32_u32_e32 v10, s12
	v_cvt_f32_u32_e32 v11, s13
	s_sub_u32 s7, 0, s12
	s_subb_u32 s18, 0, s13
	v_ashrrev_i32_e32 v14, 31, v5
	v_madmk_f32 v10, v11, 0x4f800000, v10
	v_rcp_f32_e32 v10, v10
	v_mul_f32_e32 v10, 0x5f7ffffc, v10
	v_mul_f32_e32 v11, 0x2f800000, v10
	v_trunc_f32_e32 v11, v11
	v_madmk_f32 v10, v11, 0xcf800000, v10
	v_cvt_u32_f32_e32 v11, v11
	v_cvt_u32_f32_e32 v10, v10
	v_readfirstlane_b32 s19, v11
	v_readfirstlane_b32 s0, v10
	s_mul_i32 s1, s7, s19
	s_mul_hi_u32 s25, s7, s0
	s_mul_i32 s24, s18, s0
	s_add_i32 s1, s25, s1
	s_add_i32 s1, s1, s24
	s_mul_i32 s26, s7, s0
	s_mul_i32 s25, s0, s1
	s_mul_hi_u32 s27, s0, s26
	s_mul_hi_u32 s24, s0, s1
	s_add_u32 s25, s27, s25
	s_addc_u32 s24, 0, s24
	s_mul_hi_u32 s28, s19, s26
	s_mul_i32 s26, s19, s26
	s_add_u32 s25, s25, s26
	s_mul_hi_u32 s27, s19, s1
	s_addc_u32 s24, s24, s28
	s_addc_u32 s25, s27, 0
	s_mul_i32 s1, s19, s1
	s_add_u32 s1, s24, s1
	s_addc_u32 s24, 0, s25
	s_add_u32 s25, s0, s1
	s_cselect_b64 s[0:1], -1, 0
	s_cmp_lg_u64 s[0:1], 0
	s_addc_u32 s19, s19, s24
	s_mul_i32 s0, s7, s19
	s_mul_hi_u32 s1, s7, s25
	s_add_i32 s0, s1, s0
	s_mul_i32 s18, s18, s25
	s_add_i32 s0, s0, s18
	s_mul_i32 s7, s7, s25
	s_mul_hi_u32 s18, s19, s7
	s_mul_i32 s24, s19, s7
	s_mul_i32 s27, s25, s0
	s_mul_hi_u32 s7, s25, s7
	s_mul_hi_u32 s26, s25, s0
	s_add_u32 s7, s7, s27
	s_addc_u32 s26, 0, s26
	s_add_u32 s7, s7, s24
	s_mul_hi_u32 s1, s19, s0
	s_addc_u32 s7, s26, s18
	s_addc_u32 s1, s1, 0
	s_mul_i32 s0, s19, s0
	s_add_u32 s0, s7, s0
	s_addc_u32 s7, 0, s1
	s_add_u32 s18, s25, s0
	s_cselect_b64 s[0:1], -1, 0
	s_cmp_lg_u64 s[0:1], 0
	v_add_co_u32_e32 v10, vcc, v4, v14
	s_addc_u32 s7, s19, s7
	v_xor_b32_e32 v15, v10, v14
	v_mad_u64_u32 v[10:11], s[0:1], v15, s7, 0
	v_mul_hi_u32 v13, v15, s18
	v_addc_co_u32_e32 v12, vcc, v5, v14, vcc
	v_xor_b32_e32 v16, v12, v14
	v_add_co_u32_e32 v17, vcc, v13, v10
	v_addc_co_u32_e32 v18, vcc, 0, v11, vcc
	v_mad_u64_u32 v[10:11], s[0:1], v16, s18, 0
	v_mad_u64_u32 v[12:13], s[0:1], v16, s7, 0
	v_add_co_u32_e32 v10, vcc, v17, v10
	v_addc_co_u32_e32 v10, vcc, v18, v11, vcc
	v_addc_co_u32_e32 v11, vcc, 0, v13, vcc
	v_add_co_u32_e32 v12, vcc, v10, v12
	v_addc_co_u32_e32 v13, vcc, 0, v11, vcc
	v_mul_lo_u32 v17, s13, v12
	v_mul_lo_u32 v18, s12, v13
	v_mad_u64_u32 v[10:11], s[0:1], s12, v12, 0
	v_add3_u32 v11, v11, v18, v17
	v_sub_u32_e32 v17, v16, v11
	v_mov_b32_e32 v18, s13
	v_sub_co_u32_e32 v10, vcc, v15, v10
	v_subb_co_u32_e64 v15, s[0:1], v17, v18, vcc
	v_subrev_co_u32_e64 v17, s[0:1], s12, v10
	v_subbrev_co_u32_e64 v15, s[0:1], 0, v15, s[0:1]
	v_cmp_le_u32_e64 s[0:1], s13, v15
	v_cndmask_b32_e64 v18, 0, -1, s[0:1]
	v_cmp_le_u32_e64 s[0:1], s12, v17
	v_cndmask_b32_e64 v17, 0, -1, s[0:1]
	v_cmp_eq_u32_e64 s[0:1], s13, v15
	v_cndmask_b32_e64 v15, v18, v17, s[0:1]
	v_add_co_u32_e64 v17, s[0:1], 2, v12
	v_subb_co_u32_e32 v11, vcc, v16, v11, vcc
	v_addc_co_u32_e64 v18, s[0:1], 0, v13, s[0:1]
	v_cmp_le_u32_e32 vcc, s13, v11
	v_add_co_u32_e64 v19, s[0:1], 1, v12
	v_cndmask_b32_e64 v16, 0, -1, vcc
	v_cmp_le_u32_e32 vcc, s12, v10
	v_addc_co_u32_e64 v20, s[0:1], 0, v13, s[0:1]
	v_cndmask_b32_e64 v10, 0, -1, vcc
	v_cmp_eq_u32_e32 vcc, s13, v11
	v_cmp_ne_u32_e64 s[0:1], 0, v15
	v_cndmask_b32_e32 v10, v16, v10, vcc
	v_cmp_ne_u32_e32 vcc, 0, v10
	v_cndmask_b32_e64 v11, v19, v17, s[0:1]
	v_cndmask_b32_e64 v15, v20, v18, s[0:1]
	v_cndmask_b32_e32 v11, v12, v11, vcc
	v_xor_b32_e32 v12, s6, v14
	v_cndmask_b32_e32 v10, v13, v15, vcc
	v_xor_b32_e32 v11, v11, v12
	v_xor_b32_e32 v10, v10, v12
	v_sub_co_u32_e32 v34, vcc, v11, v12
	v_subb_co_u32_e32 v35, vcc, v10, v12, vcc
.LBB4_19:
	s_andn2_saveexec_b64 s[0:1], s[2:3]
	s_cbranch_execz .LBB4_21
; %bb.20:
	v_cvt_f32_u32_e32 v10, s16
	s_sub_i32 s2, 0, s16
	v_mov_b32_e32 v35, 0
	v_rcp_iflag_f32_e32 v10, v10
	v_mul_f32_e32 v10, 0x4f7ffffe, v10
	v_cvt_u32_f32_e32 v10, v10
	v_mul_lo_u32 v11, s2, v10
	v_mul_hi_u32 v11, v10, v11
	v_add_u32_e32 v10, v10, v11
	v_mul_hi_u32 v10, v4, v10
	v_mul_lo_u32 v11, v10, s16
	v_add_u32_e32 v12, 1, v10
	v_sub_u32_e32 v11, v4, v11
	v_subrev_u32_e32 v13, s16, v11
	v_cmp_le_u32_e32 vcc, s16, v11
	v_cndmask_b32_e32 v11, v11, v13, vcc
	v_cndmask_b32_e32 v10, v10, v12, vcc
	v_add_u32_e32 v12, 1, v10
	v_cmp_le_u32_e32 vcc, s16, v11
	v_cndmask_b32_e32 v34, v10, v12, vcc
.LBB4_21:
	s_or_b64 exec, exec, s[0:1]
	v_mul_lo_u32 v12, s17, v34
	v_mul_lo_u32 v13, s16, v35
	v_mad_u64_u32 v[10:11], s[0:1], s16, v34, 0
                                        ; implicit-def: $vgpr36_vgpr37
	v_add3_u32 v11, v11, v13, v12
	v_sub_co_u32_e32 v38, vcc, v4, v10
	v_subb_co_u32_e32 v39, vcc, v5, v11, vcc
	v_or_b32_e32 v5, s41, v39
	v_mov_b32_e32 v4, 0
	v_cmp_ne_u64_e32 vcc, 0, v[4:5]
	s_and_saveexec_b64 s[0:1], vcc
	s_xor_b64 s[2:3], exec, s[0:1]
	s_cbranch_execz .LBB4_23
; %bb.22:
	s_ashr_i32 s6, s41, 31
	s_add_u32 s0, s40, s6
	s_mov_b32 s7, s6
	s_addc_u32 s1, s41, s6
	s_xor_b64 s[12:13], s[0:1], s[6:7]
	v_cvt_f32_u32_e32 v4, s12
	v_cvt_f32_u32_e32 v5, s13
	s_sub_u32 s7, 0, s12
	s_subb_u32 s16, 0, s13
	v_ashrrev_i32_e32 v12, 31, v39
	v_madmk_f32 v4, v5, 0x4f800000, v4
	v_rcp_f32_e32 v4, v4
	v_mul_f32_e32 v4, 0x5f7ffffc, v4
	v_mul_f32_e32 v5, 0x2f800000, v4
	v_trunc_f32_e32 v5, v5
	v_madmk_f32 v4, v5, 0xcf800000, v4
	v_cvt_u32_f32_e32 v5, v5
	v_cvt_u32_f32_e32 v4, v4
	v_readfirstlane_b32 s17, v5
	v_readfirstlane_b32 s0, v4
	s_mul_i32 s1, s7, s17
	s_mul_hi_u32 s19, s7, s0
	s_mul_i32 s18, s16, s0
	s_add_i32 s1, s19, s1
	s_add_i32 s1, s1, s18
	s_mul_i32 s24, s7, s0
	s_mul_i32 s19, s0, s1
	s_mul_hi_u32 s25, s0, s24
	s_mul_hi_u32 s18, s0, s1
	s_add_u32 s19, s25, s19
	s_addc_u32 s18, 0, s18
	s_mul_hi_u32 s26, s17, s24
	s_mul_i32 s24, s17, s24
	s_add_u32 s19, s19, s24
	s_mul_hi_u32 s25, s17, s1
	s_addc_u32 s18, s18, s26
	s_addc_u32 s19, s25, 0
	s_mul_i32 s1, s17, s1
	s_add_u32 s1, s18, s1
	s_addc_u32 s18, 0, s19
	s_add_u32 s19, s0, s1
	s_cselect_b64 s[0:1], -1, 0
	s_cmp_lg_u64 s[0:1], 0
	s_addc_u32 s17, s17, s18
	s_mul_i32 s0, s7, s17
	s_mul_hi_u32 s1, s7, s19
	s_add_i32 s0, s1, s0
	s_mul_i32 s16, s16, s19
	s_add_i32 s0, s0, s16
	s_mul_i32 s7, s7, s19
	s_mul_hi_u32 s16, s17, s7
	s_mul_i32 s18, s17, s7
	s_mul_i32 s25, s19, s0
	s_mul_hi_u32 s7, s19, s7
	s_mul_hi_u32 s24, s19, s0
	s_add_u32 s7, s7, s25
	s_addc_u32 s24, 0, s24
	s_add_u32 s7, s7, s18
	s_mul_hi_u32 s1, s17, s0
	s_addc_u32 s7, s24, s16
	s_addc_u32 s1, s1, 0
	s_mul_i32 s0, s17, s0
	s_add_u32 s0, s7, s0
	s_addc_u32 s7, 0, s1
	s_add_u32 s16, s19, s0
	s_cselect_b64 s[0:1], -1, 0
	s_cmp_lg_u64 s[0:1], 0
	v_add_co_u32_e32 v4, vcc, v38, v12
	s_addc_u32 s7, s17, s7
	v_xor_b32_e32 v13, v4, v12
	v_mad_u64_u32 v[4:5], s[0:1], v13, s7, 0
	v_mul_hi_u32 v11, v13, s16
	v_addc_co_u32_e32 v10, vcc, v39, v12, vcc
	v_xor_b32_e32 v14, v10, v12
	v_add_co_u32_e32 v15, vcc, v11, v4
	v_addc_co_u32_e32 v16, vcc, 0, v5, vcc
	v_mad_u64_u32 v[4:5], s[0:1], v14, s16, 0
	v_mad_u64_u32 v[10:11], s[0:1], v14, s7, 0
	v_add_co_u32_e32 v4, vcc, v15, v4
	v_addc_co_u32_e32 v4, vcc, v16, v5, vcc
	v_addc_co_u32_e32 v5, vcc, 0, v11, vcc
	v_add_co_u32_e32 v10, vcc, v4, v10
	v_addc_co_u32_e32 v11, vcc, 0, v5, vcc
	v_mul_lo_u32 v15, s13, v10
	v_mul_lo_u32 v16, s12, v11
	v_mad_u64_u32 v[4:5], s[0:1], s12, v10, 0
	v_add3_u32 v5, v5, v16, v15
	v_sub_u32_e32 v15, v14, v5
	v_mov_b32_e32 v16, s13
	v_sub_co_u32_e32 v4, vcc, v13, v4
	v_subb_co_u32_e64 v13, s[0:1], v15, v16, vcc
	v_subrev_co_u32_e64 v15, s[0:1], s12, v4
	v_subbrev_co_u32_e64 v13, s[0:1], 0, v13, s[0:1]
	v_cmp_le_u32_e64 s[0:1], s13, v13
	v_cndmask_b32_e64 v16, 0, -1, s[0:1]
	v_cmp_le_u32_e64 s[0:1], s12, v15
	v_cndmask_b32_e64 v15, 0, -1, s[0:1]
	v_cmp_eq_u32_e64 s[0:1], s13, v13
	v_cndmask_b32_e64 v13, v16, v15, s[0:1]
	v_add_co_u32_e64 v15, s[0:1], 2, v10
	v_subb_co_u32_e32 v5, vcc, v14, v5, vcc
	v_addc_co_u32_e64 v16, s[0:1], 0, v11, s[0:1]
	v_cmp_le_u32_e32 vcc, s13, v5
	v_add_co_u32_e64 v17, s[0:1], 1, v10
	v_cndmask_b32_e64 v14, 0, -1, vcc
	v_cmp_le_u32_e32 vcc, s12, v4
	v_addc_co_u32_e64 v18, s[0:1], 0, v11, s[0:1]
	v_cndmask_b32_e64 v4, 0, -1, vcc
	v_cmp_eq_u32_e32 vcc, s13, v5
	v_cmp_ne_u32_e64 s[0:1], 0, v13
	v_cndmask_b32_e32 v4, v14, v4, vcc
	v_cmp_ne_u32_e32 vcc, 0, v4
	v_cndmask_b32_e64 v5, v17, v15, s[0:1]
	v_cndmask_b32_e64 v13, v18, v16, s[0:1]
	v_cndmask_b32_e32 v5, v10, v5, vcc
	v_xor_b32_e32 v10, s6, v12
	v_cndmask_b32_e32 v4, v11, v13, vcc
	v_xor_b32_e32 v5, v5, v10
	v_xor_b32_e32 v4, v4, v10
	v_sub_co_u32_e32 v36, vcc, v5, v10
	v_subb_co_u32_e32 v37, vcc, v4, v10, vcc
.LBB4_23:
	s_andn2_saveexec_b64 s[0:1], s[2:3]
	s_cbranch_execz .LBB4_25
; %bb.24:
	v_cvt_f32_u32_e32 v4, s40
	s_sub_i32 s2, 0, s40
	v_mov_b32_e32 v37, 0
	v_rcp_iflag_f32_e32 v4, v4
	v_mul_f32_e32 v4, 0x4f7ffffe, v4
	v_cvt_u32_f32_e32 v4, v4
	v_mul_lo_u32 v5, s2, v4
	v_mul_hi_u32 v5, v4, v5
	v_add_u32_e32 v4, v4, v5
	v_mul_hi_u32 v4, v38, v4
	v_mul_lo_u32 v5, v4, s40
	v_add_u32_e32 v10, 1, v4
	v_sub_u32_e32 v5, v38, v5
	v_subrev_u32_e32 v11, s40, v5
	v_cmp_le_u32_e32 vcc, s40, v5
	v_cndmask_b32_e32 v5, v5, v11, vcc
	v_cndmask_b32_e32 v4, v4, v10, vcc
	v_add_u32_e32 v10, 1, v4
	v_cmp_le_u32_e32 vcc, s40, v5
	v_cndmask_b32_e32 v36, v4, v10, vcc
.LBB4_25:
	s_or_b64 exec, exec, s[0:1]
	v_mul_lo_u32 v10, v7, s14
	v_mul_lo_u32 v11, v6, s15
	v_mad_u64_u32 v[4:5], s[0:1], v6, s14, 0
	v_mul_lo_u32 v7, v7, s22
	v_mul_lo_u32 v3, v3, s36
	v_add3_u32 v5, v5, v11, v10
	v_sub_co_u32_e32 v8, vcc, v8, v4
	v_subb_co_u32_e32 v9, vcc, v9, v5, vcc
	v_mov_b32_e32 v4, s8
	v_mov_b32_e32 v5, s9
	v_mul_lo_u32 v10, v8, s21
	v_mul_lo_u32 v9, v9, s20
	v_mad_u64_u32 v[4:5], s[0:1], v8, s20, v[4:5]
	v_mul_lo_u32 v1, v1, s38
	s_mov_b32 s2, 0x41700000
	v_add3_u32 v5, v9, v5, v10
	v_mad_u64_u32 v[4:5], s[0:1], v6, s22, v[4:5]
	v_mul_lo_u32 v6, v6, s23
	v_mul_lo_u32 v35, v35, s50
	v_add3_u32 v5, v7, v5, v6
	v_mad_u64_u32 v[4:5], s[0:1], v2, s36, v[4:5]
	v_mul_lo_u32 v2, v2, s37
	v_add3_u32 v5, v3, v5, v2
	v_mad_u64_u32 v[4:5], s[0:1], v0, s38, v[4:5]
	v_mul_lo_u32 v0, v0, s39
	v_add3_u32 v5, v1, v5, v0
	global_load_dwordx4 v[20:23], v[4:5], off
	global_load_dwordx4 v[12:15], v[4:5], off offset:16
	global_load_dwordx4 v[8:11], v[4:5], off offset:32
	;; [unrolled: 1-line block ×6, first 2 shown]
	s_nop 0
	global_load_dwordx4 v[4:7], v[4:5], off offset:112
	s_waitcnt vmcnt(7)
	v_max_f32_e32 v40, v20, v20
	v_min_f32_e32 v41, 0x7f7fffff, v40
	v_max_f32_e32 v40, 0xff7fffff, v40
	v_cmp_lt_f32_e32 vcc, v21, v41
	v_cndmask_b32_e32 v41, v41, v21, vcc
	v_cmp_gt_f32_e32 vcc, v21, v40
	v_cndmask_b32_e32 v40, v40, v21, vcc
	v_cmp_lt_f32_e32 vcc, v22, v41
	v_cndmask_b32_e32 v41, v41, v22, vcc
	v_cmp_gt_f32_e32 vcc, v22, v40
	v_cndmask_b32_e32 v40, v40, v22, vcc
	;; [unrolled: 4-line block ×3, first 2 shown]
	s_waitcnt vmcnt(6)
	v_cmp_lt_f32_e32 vcc, v12, v41
	v_cndmask_b32_e32 v40, v41, v12, vcc
	v_cmp_lt_f32_e32 vcc, v13, v40
	v_cndmask_b32_e32 v40, v40, v13, vcc
	v_cmp_lt_f32_e32 vcc, v14, v40
	v_cndmask_b32_e32 v40, v40, v14, vcc
	v_cmp_lt_f32_e32 vcc, v15, v40
	v_cndmask_b32_e32 v40, v40, v15, vcc
	s_waitcnt vmcnt(5)
	v_cmp_lt_f32_e32 vcc, v8, v40
	v_cndmask_b32_e32 v40, v40, v8, vcc
	v_cmp_lt_f32_e32 vcc, v9, v40
	v_cndmask_b32_e32 v40, v40, v9, vcc
	v_cmp_lt_f32_e32 vcc, v10, v40
	v_cndmask_b32_e32 v40, v40, v10, vcc
	v_cmp_lt_f32_e32 vcc, v11, v40
	v_cndmask_b32_e32 v40, v40, v11, vcc
	;; [unrolled: 9-line block ×7, first 2 shown]
	v_cmp_gt_f32_e32 vcc, v12, v42
	v_sub_f32_e32 v41, v20, v40
	v_sub_f32_e32 v20, v23, v40
	v_cndmask_b32_e32 v23, v42, v12, vcc
	v_cmp_gt_f32_e32 vcc, v13, v23
	v_cndmask_b32_e32 v23, v23, v13, vcc
	v_cmp_gt_f32_e32 vcc, v14, v23
	;; [unrolled: 2-line block ×16, first 2 shown]
	v_sub_f32_e32 v43, v30, v40
	v_sub_f32_e32 v30, v12, v40
	v_cndmask_b32_e32 v12, v45, v24, vcc
	v_cmp_gt_f32_e32 vcc, v25, v12
	v_cndmask_b32_e32 v12, v12, v25, vcc
	v_cmp_gt_f32_e32 vcc, v26, v12
	;; [unrolled: 2-line block ×4, first 2 shown]
	v_sub_f32_e32 v44, v28, v40
	v_sub_f32_e32 v28, v13, v40
	;; [unrolled: 1-line block ×4, first 2 shown]
	v_cndmask_b32_e32 v8, v45, v16, vcc
	v_cmp_gt_f32_e32 vcc, v17, v8
	v_cndmask_b32_e32 v8, v8, v17, vcc
	v_cmp_gt_f32_e32 vcc, v18, v8
	;; [unrolled: 2-line block ×3, first 2 shown]
	v_sub_f32_e32 v12, v27, v40
	v_cndmask_b32_e32 v27, v8, v19, vcc
	v_cmp_gt_f32_e32 vcc, v4, v27
	v_sub_f32_e32 v42, v29, v40
	v_sub_f32_e32 v29, v14, v40
	;; [unrolled: 1-line block ×5, first 2 shown]
	v_cndmask_b32_e32 v17, v27, v4, vcc
	v_cmp_gt_f32_e32 vcc, v5, v17
	v_cndmask_b32_e32 v17, v17, v5, vcc
	v_cmp_gt_f32_e32 vcc, v6, v17
	;; [unrolled: 2-line block ×3, first 2 shown]
	v_cndmask_b32_e32 v17, v17, v7, vcc
	v_sub_f32_e32 v8, v19, v40
	v_sub_f32_e32 v19, v17, v40
	v_div_scale_f32 v17, s[0:1], s2, s2, v19
	v_sub_f32_e32 v23, v31, v40
	v_sub_f32_e32 v31, v24, v40
	;; [unrolled: 1-line block ×11, first 2 shown]
	v_rcp_f32_e32 v18, v17
	v_fma_f32 v27, -v17, v18, 1.0
	v_fmac_f32_e32 v18, v27, v18
	v_div_scale_f32 v27, vcc, v19, s2, v19
	v_mul_f32_e32 v45, v27, v18
	v_fma_f32 v46, -v17, v45, v27
	v_fmac_f32_e32 v45, v46, v18
	v_fma_f32 v17, -v17, v45, v27
	v_div_fmas_f32 v27, v17, v18, v45
	v_mul_lo_u32 v45, v37, s40
	v_mul_lo_u32 v46, v36, s41
	v_mad_u64_u32 v[17:18], s[0:1], v36, s40, 0
	v_mul_lo_u32 v37, v37, s48
	v_add3_u32 v18, v18, v46, v45
	v_sub_co_u32_e32 v17, vcc, v38, v17
	v_subb_co_u32_e32 v18, vcc, v39, v18, vcc
	v_ashrrev_i32_e32 v38, 31, v18
	v_lshrrev_b32_e32 v38, 27, v38
	v_add_co_u32_e32 v17, vcc, v17, v38
	v_addc_co_u32_e32 v18, vcc, 0, v18, vcc
	v_ashrrev_i64 v[17:18], 5, v[17:18]
	v_mov_b32_e32 v38, s10
	v_mov_b32_e32 v39, s11
	v_mad_u64_u32 v[38:39], s[0:1], v17, s46, v[38:39]
	v_mul_lo_u32 v17, v17, s47
	v_mul_lo_u32 v18, v18, s46
	v_div_fixup_f32 v46, v27, s2, v19
	s_load_dwordx2 s[2:3], s[4:5], 0x80
	v_add3_u32 v39, v18, v39, v17
	v_div_scale_f32 v17, s[0:1], v46, v46, 1.0
	v_rcp_f32_e32 v18, v17
	v_fma_f32 v19, -v17, v18, 1.0
	v_fmac_f32_e32 v18, v19, v18
	v_div_scale_f32 v19, vcc, 1.0, v46, 1.0
	v_mul_f32_e32 v27, v19, v18
	v_fma_f32 v45, -v17, v27, v19
	v_fmac_f32_e32 v27, v45, v18
	v_fma_f32 v17, -v17, v27, v19
	v_div_fmas_f32 v27, v17, v18, v27
	v_mad_u64_u32 v[17:18], s[0:1], v36, s48, v[38:39]
	v_mul_lo_u32 v19, v36, s49
	v_sub_f32_e32 v36, v0, v40
	v_cmp_neq_f32_e32 vcc, 0, v46
	v_add3_u32 v18, v37, v18, v19
	v_sub_f32_e32 v19, v1, v40
	v_mad_u64_u32 v[0:1], s[0:1], v34, s50, v[17:18]
	v_mul_lo_u32 v18, v34, s51
	v_sub_f32_e32 v17, v2, v40
	v_sub_f32_e32 v34, v4, v40
	v_add3_u32 v1, v35, v1, v18
	v_div_fixup_f32 v2, v27, v46, 1.0
	v_cndmask_b32_e32 v4, 0, v2, vcc
	v_fma_f32 v18, v44, v4, 0.5
	v_fma_f32 v2, v41, v4, 0.5
	v_cvt_i32_f32_e32 v18, v18
	v_cvt_i32_f32_e32 v2, v2
	s_waitcnt lgkmcnt(0)
	v_mad_u64_u32 v[0:1], s[0:1], v32, s2, v[0:1]
	v_cvt_f64_i32_e32 v[37:38], v18
	v_cvt_f64_i32_e32 v[44:45], v2
	s_mov_b32 s0, 0
	s_mov_b32 s1, 0x402e0000
	v_min_f64 v[37:38], v[37:38], s[0:1]
	v_min_f64 v[44:45], v[44:45], s[0:1]
	v_mul_lo_u32 v32, v32, s3
	v_mul_lo_u32 v2, v33, s2
	v_sub_f32_e32 v27, v6, v40
	v_sub_f32_e32 v18, v7, v40
	v_cvt_f16_f32_e32 v6, v46
	v_cvt_f16_f32_e32 v7, v40
	v_add3_u32 v1, v2, v1, v32
	v_cvt_i32_f64_e32 v2, v[37:38]
	v_cvt_i32_f64_e32 v32, v[44:45]
	v_pack_b32_f16 v6, v6, v7
	v_fma_f32 v7, v22, v4, 0.5
	global_store_dword v[0:1], v6, off
	v_fma_f32 v6, v21, v4, 0.5
	v_cvt_i32_f32_e32 v21, v7
	v_lshlrev_b16_e32 v2, 4, v2
	v_fma_f32 v7, v43, v4, 0.5
	v_or_b32_e32 v2, v2, v32
	v_cvt_f64_i32_e32 v[21:22], v21
	v_cvt_i32_f32_e32 v32, v7
	v_fma_f32 v7, v42, v4, 0.5
	v_cvt_i32_f32_e32 v6, v6
	v_min_f64 v[21:22], v[21:22], s[0:1]
	v_cvt_i32_f32_e32 v35, v7
	v_cvt_f64_i32_e32 v[32:33], v32
	v_fma_f32 v20, v20, v4, 0.5
	v_cvt_i32_f32_e32 v20, v20
	v_fma_f32 v30, v30, v4, 0.5
	v_cvt_f64_i32_e32 v[6:7], v6
	v_cvt_f64_i32_e32 v[37:38], v35
	v_min_f64 v[32:33], v[32:33], s[0:1]
	v_cvt_i32_f32_e32 v30, v30
	v_cvt_i32_f64_e32 v35, v[21:22]
	v_cvt_f64_i32_e32 v[20:21], v20
	v_min_f64 v[6:7], v[6:7], s[0:1]
	v_min_f64 v[37:38], v[37:38], s[0:1]
	v_cvt_f64_i32_e32 v[39:40], v30
	v_min_f64 v[21:22], v[20:21], s[0:1]
	v_fma_f32 v20, v31, v4, 0.5
	v_cvt_i32_f32_e32 v31, v20
	v_fma_f32 v20, v23, v4, 0.5
	v_cvt_i32_f64_e32 v30, v[32:33]
	v_min_f64 v[32:33], v[39:40], s[0:1]
	v_cvt_i32_f32_e32 v23, v20
	v_cvt_i32_f64_e32 v6, v[6:7]
	v_cvt_i32_f64_e32 v7, v[37:38]
	v_lshlrev_b16_e32 v20, 4, v30
	v_cvt_f64_i32_e32 v[30:31], v31
	v_cvt_f64_i32_e32 v[37:38], v23
	v_fma_f32 v28, v28, v4, 0.5
	v_cvt_i32_f32_e32 v28, v28
	v_fma_f32 v29, v29, v4, 0.5
	v_or_b32_e32 v20, v20, v35
	v_cvt_i32_f64_e32 v21, v[21:22]
	v_cvt_i32_f64_e32 v35, v[32:33]
	v_min_f64 v[22:23], v[30:31], s[0:1]
	v_min_f64 v[30:31], v[37:38], s[0:1]
	v_cvt_i32_f32_e32 v32, v29
	v_cvt_f64_i32_e32 v[28:29], v28
	v_fma_f32 v25, v25, v4, 0.5
	v_cvt_i32_f32_e32 v25, v25
	v_cvt_f64_i32_e32 v[32:33], v32
	v_min_f64 v[28:29], v[28:29], s[0:1]
	v_cvt_i32_f64_e32 v23, v[22:23]
	v_cvt_i32_f64_e32 v22, v[30:31]
	v_min_f64 v[30:31], v[32:33], s[0:1]
	v_fma_f32 v24, v24, v4, 0.5
	v_cvt_f64_i32_e32 v[37:38], v25
	v_cvt_i32_f32_e32 v25, v24
	v_fma_f32 v13, v13, v4, 0.5
	v_cvt_i32_f32_e32 v13, v13
	v_min_f64 v[32:33], v[37:38], s[0:1]
	v_cvt_i32_f64_e32 v24, v[28:29]
	v_cvt_f64_i32_e32 v[28:29], v25
	v_lshlrev_b16_e32 v23, 4, v23
	v_or_b32_e32 v23, v23, v35
	v_cvt_i32_f64_e32 v35, v[30:31]
	v_cvt_f64_i32_e32 v[30:31], v13
	v_fma_f32 v13, v15, v4, 0.5
	v_fma_f32 v15, v26, v4, 0.5
	v_min_f64 v[28:29], v[28:29], s[0:1]
	v_cvt_i32_f32_e32 v13, v13
	v_cvt_i32_f32_e32 v15, v15
	v_cvt_i32_f64_e32 v39, v[32:33]
	v_min_f64 v[25:26], v[30:31], s[0:1]
	v_cvt_f64_i32_e32 v[30:31], v13
	v_cvt_f64_i32_e32 v[32:33], v15
	v_fma_f32 v12, v12, v4, 0.5
	v_cvt_i32_f32_e32 v12, v12
	v_cvt_i32_f64_e32 v13, v[28:29]
	v_min_f64 v[28:29], v[30:31], s[0:1]
	v_min_f64 v[30:31], v[32:33], s[0:1]
	v_fma_f32 v10, v10, v4, 0.5
	v_cvt_f64_i32_e32 v[37:38], v12
	v_cvt_i32_f32_e32 v10, v10
	v_fma_f32 v11, v11, v4, 0.5
	v_fma_f32 v14, v14, v4, 0.5
	v_min_f64 v[32:33], v[37:38], s[0:1]
	v_cvt_i32_f64_e32 v15, v[25:26]
	v_cvt_i32_f64_e32 v37, v[30:31]
	v_cvt_i32_f32_e32 v30, v11
	v_cvt_f64_i32_e32 v[10:11], v10
	v_cvt_i32_f32_e32 v25, v14
	v_fma_f32 v16, v16, v4, 0.5
	v_cvt_i32_f32_e32 v16, v16
	v_min_f64 v[10:11], v[10:11], s[0:1]
	v_lshlrev_b16_e32 v12, 4, v39
	v_cvt_f64_i32_e32 v[25:26], v25
	v_or_b32_e32 v12, v12, v35
	v_cvt_i32_f64_e32 v35, v[28:29]
	v_cvt_f64_i32_e32 v[28:29], v16
	v_fma_f32 v9, v9, v4, 0.5
	v_cvt_f64_i32_e32 v[30:31], v30
	v_cvt_i32_f32_e32 v9, v9
	v_min_f64 v[25:26], v[25:26], s[0:1]
	v_min_f64 v[28:29], v[28:29], s[0:1]
	v_lshlrev_b16_e32 v16, 4, v37
	v_min_f64 v[30:31], v[30:31], s[0:1]
	v_cvt_i32_f64_e32 v11, v[10:11]
	v_cvt_f64_i32_e32 v[9:10], v9
	v_cvt_i32_f64_e32 v14, v[32:33]
	v_or_b32_e32 v32, v16, v35
	v_fma_f32 v16, v36, v4, 0.5
	v_cvt_i32_f32_e32 v16, v16
	v_fma_f32 v8, v8, v4, 0.5
	v_min_f64 v[9:10], v[9:10], s[0:1]
	v_cvt_i32_f32_e32 v8, v8
	v_cvt_i32_f64_e32 v33, v[25:26]
	v_cvt_f64_i32_e32 v[25:26], v16
	v_fma_f32 v16, v34, v4, 0.5
	v_cvt_i32_f64_e32 v28, v[28:29]
	v_cvt_i32_f32_e32 v16, v16
	v_cvt_i32_f64_e32 v35, v[30:31]
	v_cvt_f64_i32_e32 v[30:31], v8
	v_lshlrev_b16_e32 v34, 4, v28
	v_cvt_f64_i32_e32 v[28:29], v16
	v_fma_f32 v16, v19, v4, 0.5
	v_or_b32_e32 v34, v34, v11
	v_cvt_i32_f64_e32 v36, v[9:10]
	v_min_f64 v[10:11], v[30:31], s[0:1]
	v_cvt_i32_f32_e32 v16, v16
	v_fma_f32 v17, v17, v4, 0.5
	v_cvt_i32_f32_e32 v19, v17
	v_min_f64 v[8:9], v[28:29], s[0:1]
	v_cvt_f64_i32_e32 v[16:17], v16
	v_min_f64 v[25:26], v[25:26], s[0:1]
	v_fma_f32 v5, v5, v4, 0.5
	v_cvt_i32_f64_e32 v30, v[10:11]
	v_min_f64 v[10:11], v[16:17], s[0:1]
	v_fma_f32 v16, v27, v4, 0.5
	v_cvt_i32_f32_e32 v16, v16
	v_cvt_i32_f32_e32 v5, v5
	v_cvt_i32_f64_e32 v29, v[8:9]
	v_cvt_f64_i32_e32 v[8:9], v19
	v_cvt_f64_i32_e32 v[16:17], v16
	v_fma_f32 v19, v3, v4, 0.5
	v_fma_f32 v18, v18, v4, 0.5
	v_cvt_i32_f64_e32 v28, v[25:26]
	v_cvt_f64_i32_e32 v[3:4], v5
	v_cvt_i32_f32_e32 v5, v19
	v_cvt_i32_f32_e32 v25, v18
	v_min_f64 v[16:17], v[16:17], s[0:1]
	v_min_f64 v[8:9], v[8:9], s[0:1]
	v_cvt_f64_i32_e32 v[18:19], v5
	v_cvt_f64_i32_e32 v[25:26], v25
	v_min_f64 v[3:4], v[3:4], s[0:1]
	v_lshlrev_b16_e32 v5, 4, v29
	v_min_f64 v[18:19], v[18:19], s[0:1]
	v_min_f64 v[25:26], v[25:26], s[0:1]
	v_cvt_i32_f64_e32 v16, v[16:17]
	v_cvt_i32_f64_e32 v8, v[8:9]
	v_cvt_i32_f64_e32 v9, v[10:11]
	v_or_b32_e32 v5, v5, v28
	v_cvt_i32_f64_e32 v3, v[3:4]
	v_lshlrev_b16_e32 v4, 4, v16
	v_or_b32_e32 v4, v4, v8
	v_cvt_i32_f64_e32 v8, v[18:19]
	v_cvt_i32_f64_e32 v10, v[25:26]
	v_lshlrev_b16_e32 v9, 8, v9
	v_lshlrev_b16_e32 v3, 12, v3
	v_or_b32_e32 v3, v3, v9
	v_or_b32_sdwa v3, v5, v3 dst_sel:DWORD dst_unused:UNUSED_PAD src0_sel:BYTE_0 src1_sel:DWORD
	v_lshlrev_b16_e32 v5, 8, v8
	v_lshlrev_b16_e32 v8, 12, v10
	v_or_b32_e32 v5, v8, v5
	v_or_b32_sdwa v4, v4, v5 dst_sel:WORD_1 dst_unused:UNUSED_PAD src0_sel:BYTE_0 src1_sel:DWORD
	v_or_b32_sdwa v5, v3, v4 dst_sel:DWORD dst_unused:UNUSED_PAD src0_sel:WORD_0 src1_sel:DWORD
	v_lshlrev_b16_e32 v3, 8, v33
	v_lshlrev_b16_e32 v4, 12, v35
	v_or_b32_e32 v3, v4, v3
	v_lshlrev_b16_e32 v4, 8, v36
	v_lshlrev_b16_e32 v8, 12, v30
	v_or_b32_e32 v4, v8, v4
	v_or_b32_sdwa v3, v32, v3 dst_sel:DWORD dst_unused:UNUSED_PAD src0_sel:BYTE_0 src1_sel:DWORD
	v_or_b32_sdwa v4, v34, v4 dst_sel:WORD_1 dst_unused:UNUSED_PAD src0_sel:BYTE_0 src1_sel:DWORD
	v_lshlrev_b16_e32 v6, 8, v6
	v_lshlrev_b16_e32 v7, 12, v7
	v_or_b32_sdwa v4, v3, v4 dst_sel:DWORD dst_unused:UNUSED_PAD src0_sel:WORD_0 src1_sel:DWORD
	v_lshlrev_b16_e32 v3, 8, v24
	v_lshlrev_b16_e32 v8, 12, v13
	v_or_b32_e32 v6, v7, v6
	v_or_b32_e32 v3, v8, v3
	v_lshlrev_b16_e32 v8, 8, v15
	v_lshlrev_b16_e32 v9, 12, v14
	v_or_b32_sdwa v2, v2, v6 dst_sel:DWORD dst_unused:UNUSED_PAD src0_sel:BYTE_0 src1_sel:DWORD
	v_lshlrev_b16_e32 v6, 8, v21
	v_lshlrev_b16_e32 v7, 12, v22
	v_or_b32_e32 v8, v9, v8
	v_or_b32_e32 v6, v7, v6
	v_or_b32_sdwa v3, v23, v3 dst_sel:DWORD dst_unused:UNUSED_PAD src0_sel:BYTE_0 src1_sel:DWORD
	v_or_b32_sdwa v8, v12, v8 dst_sel:WORD_1 dst_unused:UNUSED_PAD src0_sel:BYTE_0 src1_sel:DWORD
	v_or_b32_sdwa v6, v20, v6 dst_sel:WORD_1 dst_unused:UNUSED_PAD src0_sel:BYTE_0 src1_sel:DWORD
	v_or_b32_sdwa v3, v3, v8 dst_sel:DWORD dst_unused:UNUSED_PAD src0_sel:WORD_0 src1_sel:DWORD
	v_or_b32_sdwa v2, v2, v6 dst_sel:DWORD dst_unused:UNUSED_PAD src0_sel:WORD_0 src1_sel:DWORD
	global_store_dwordx4 v[0:1], v[2:5], off offset:4
.LBB4_26:
	s_endpgm
	.section	.rodata,"a",@progbits
	.p2align	6, 0x0
	.amdhsa_kernel _ZL9cpy_f32_qIXadL_ZL17cpy_blck_f32_q4_1PKcPcEELi32EEvS1_S2_lllllllllllllll
		.amdhsa_group_segment_fixed_size 0
		.amdhsa_private_segment_fixed_size 0
		.amdhsa_kernarg_size 392
		.amdhsa_user_sgpr_count 6
		.amdhsa_user_sgpr_private_segment_buffer 1
		.amdhsa_user_sgpr_dispatch_ptr 0
		.amdhsa_user_sgpr_queue_ptr 0
		.amdhsa_user_sgpr_kernarg_segment_ptr 1
		.amdhsa_user_sgpr_dispatch_id 0
		.amdhsa_user_sgpr_flat_scratch_init 0
		.amdhsa_user_sgpr_private_segment_size 0
		.amdhsa_uses_dynamic_stack 0
		.amdhsa_system_sgpr_private_segment_wavefront_offset 0
		.amdhsa_system_sgpr_workgroup_id_x 1
		.amdhsa_system_sgpr_workgroup_id_y 0
		.amdhsa_system_sgpr_workgroup_id_z 0
		.amdhsa_system_sgpr_workgroup_info 0
		.amdhsa_system_vgpr_workitem_id 0
		.amdhsa_next_free_vgpr 47
		.amdhsa_next_free_sgpr 52
		.amdhsa_reserve_vcc 1
		.amdhsa_reserve_flat_scratch 0
		.amdhsa_float_round_mode_32 0
		.amdhsa_float_round_mode_16_64 0
		.amdhsa_float_denorm_mode_32 3
		.amdhsa_float_denorm_mode_16_64 3
		.amdhsa_dx10_clamp 1
		.amdhsa_ieee_mode 1
		.amdhsa_fp16_overflow 0
		.amdhsa_exception_fp_ieee_invalid_op 0
		.amdhsa_exception_fp_denorm_src 0
		.amdhsa_exception_fp_ieee_div_zero 0
		.amdhsa_exception_fp_ieee_overflow 0
		.amdhsa_exception_fp_ieee_underflow 0
		.amdhsa_exception_fp_ieee_inexact 0
		.amdhsa_exception_int_div_zero 0
	.end_amdhsa_kernel
	.section	.text._ZL9cpy_f32_qIXadL_ZL17cpy_blck_f32_q4_1PKcPcEELi32EEvS1_S2_lllllllllllllll,"axG",@progbits,_ZL9cpy_f32_qIXadL_ZL17cpy_blck_f32_q4_1PKcPcEELi32EEvS1_S2_lllllllllllllll,comdat
.Lfunc_end4:
	.size	_ZL9cpy_f32_qIXadL_ZL17cpy_blck_f32_q4_1PKcPcEELi32EEvS1_S2_lllllllllllllll, .Lfunc_end4-_ZL9cpy_f32_qIXadL_ZL17cpy_blck_f32_q4_1PKcPcEELi32EEvS1_S2_lllllllllllllll
                                        ; -- End function
	.set _ZL9cpy_f32_qIXadL_ZL17cpy_blck_f32_q4_1PKcPcEELi32EEvS1_S2_lllllllllllllll.num_vgpr, 47
	.set _ZL9cpy_f32_qIXadL_ZL17cpy_blck_f32_q4_1PKcPcEELi32EEvS1_S2_lllllllllllllll.num_agpr, 0
	.set _ZL9cpy_f32_qIXadL_ZL17cpy_blck_f32_q4_1PKcPcEELi32EEvS1_S2_lllllllllllllll.numbered_sgpr, 52
	.set _ZL9cpy_f32_qIXadL_ZL17cpy_blck_f32_q4_1PKcPcEELi32EEvS1_S2_lllllllllllllll.num_named_barrier, 0
	.set _ZL9cpy_f32_qIXadL_ZL17cpy_blck_f32_q4_1PKcPcEELi32EEvS1_S2_lllllllllllllll.private_seg_size, 0
	.set _ZL9cpy_f32_qIXadL_ZL17cpy_blck_f32_q4_1PKcPcEELi32EEvS1_S2_lllllllllllllll.uses_vcc, 1
	.set _ZL9cpy_f32_qIXadL_ZL17cpy_blck_f32_q4_1PKcPcEELi32EEvS1_S2_lllllllllllllll.uses_flat_scratch, 0
	.set _ZL9cpy_f32_qIXadL_ZL17cpy_blck_f32_q4_1PKcPcEELi32EEvS1_S2_lllllllllllllll.has_dyn_sized_stack, 0
	.set _ZL9cpy_f32_qIXadL_ZL17cpy_blck_f32_q4_1PKcPcEELi32EEvS1_S2_lllllllllllllll.has_recursion, 0
	.set _ZL9cpy_f32_qIXadL_ZL17cpy_blck_f32_q4_1PKcPcEELi32EEvS1_S2_lllllllllllllll.has_indirect_call, 0
	.section	.AMDGPU.csdata,"",@progbits
; Kernel info:
; codeLenInByte = 7312
; TotalNumSgprs: 56
; NumVgprs: 47
; ScratchSize: 0
; MemoryBound: 0
; FloatMode: 240
; IeeeMode: 1
; LDSByteSize: 0 bytes/workgroup (compile time only)
; SGPRBlocks: 6
; VGPRBlocks: 11
; NumSGPRsForWavesPerEU: 56
; NumVGPRsForWavesPerEU: 47
; Occupancy: 5
; WaveLimiterHint : 0
; COMPUTE_PGM_RSRC2:SCRATCH_EN: 0
; COMPUTE_PGM_RSRC2:USER_SGPR: 6
; COMPUTE_PGM_RSRC2:TRAP_HANDLER: 0
; COMPUTE_PGM_RSRC2:TGID_X_EN: 1
; COMPUTE_PGM_RSRC2:TGID_Y_EN: 0
; COMPUTE_PGM_RSRC2:TGID_Z_EN: 0
; COMPUTE_PGM_RSRC2:TIDIG_COMP_CNT: 0
	.section	.text._ZL9cpy_q_f32IXadL_ZL14cpy_blck_q_f32IXadL_ZL15dequantize_q4_1PKvliR15HIP_vector_typeIfLj2EEEELi32EEvPKcPcEELi32EEvS7_S8_lllllllllllllll,"axG",@progbits,_ZL9cpy_q_f32IXadL_ZL14cpy_blck_q_f32IXadL_ZL15dequantize_q4_1PKvliR15HIP_vector_typeIfLj2EEEELi32EEvPKcPcEELi32EEvS7_S8_lllllllllllllll,comdat
	.globl	_ZL9cpy_q_f32IXadL_ZL14cpy_blck_q_f32IXadL_ZL15dequantize_q4_1PKvliR15HIP_vector_typeIfLj2EEEELi32EEvPKcPcEELi32EEvS7_S8_lllllllllllllll ; -- Begin function _ZL9cpy_q_f32IXadL_ZL14cpy_blck_q_f32IXadL_ZL15dequantize_q4_1PKvliR15HIP_vector_typeIfLj2EEEELi32EEvPKcPcEELi32EEvS7_S8_lllllllllllllll
	.p2align	8
	.type	_ZL9cpy_q_f32IXadL_ZL14cpy_blck_q_f32IXadL_ZL15dequantize_q4_1PKvliR15HIP_vector_typeIfLj2EEEELi32EEvPKcPcEELi32EEvS7_S8_lllllllllllllll,@function
_ZL9cpy_q_f32IXadL_ZL14cpy_blck_q_f32IXadL_ZL15dequantize_q4_1PKvliR15HIP_vector_typeIfLj2EEEELi32EEvPKcPcEELi32EEvS7_S8_lllllllllllllll: ; @_ZL9cpy_q_f32IXadL_ZL14cpy_blck_q_f32IXadL_ZL15dequantize_q4_1PKvliR15HIP_vector_typeIfLj2EEEELi32EEvPKcPcEELi32EEvS7_S8_lllllllllllllll
; %bb.0:
	s_load_dword s0, s[4:5], 0x94
	v_mov_b32_e32 v2, 0
	v_mov_b32_e32 v1, v2
	;; [unrolled: 1-line block ×3, first 2 shown]
	s_load_dwordx16 s[8:23], s[4:5], 0x0
	s_waitcnt lgkmcnt(0)
	s_and_b32 s0, s0, 0xffff
	v_mad_u64_u32 v[0:1], s[0:1], s0, v3, v[0:1]
	v_lshlrev_b64 v[4:5], 5, v[0:1]
	v_cmp_gt_i64_e32 vcc, s[12:13], v[4:5]
	s_and_saveexec_b64 s[0:1], vcc
	s_cbranch_execz .LBB5_26
; %bb.1:
	s_mul_i32 s0, s16, s15
	s_mul_hi_u32 s1, s16, s14
	s_add_i32 s0, s1, s0
	s_mul_i32 s1, s17, s14
	s_mul_i32 s16, s16, s14
	s_add_i32 s17, s0, s1
	s_mul_i32 s0, s16, s19
	s_mul_hi_u32 s1, s16, s18
	s_add_i32 s0, s1, s0
	s_mul_i32 s1, s17, s18
	s_add_i32 s19, s0, s1
	v_or_b32_e32 v3, s19, v5
	v_cmp_ne_u64_e32 vcc, 0, v[2:3]
	s_mul_i32 s18, s16, s18
	v_ashrrev_i32_e32 v10, 31, v5
                                        ; implicit-def: $vgpr0_vgpr1
	s_and_saveexec_b64 s[0:1], vcc
	s_xor_b64 s[2:3], exec, s[0:1]
	s_cbranch_execz .LBB5_3
; %bb.2:
	s_ashr_i32 s6, s19, 31
	s_add_u32 s0, s18, s6
	s_mov_b32 s7, s6
	s_addc_u32 s1, s19, s6
	s_xor_b64 s[12:13], s[0:1], s[6:7]
	v_cvt_f32_u32_e32 v0, s12
	v_cvt_f32_u32_e32 v1, s13
	s_sub_u32 s7, 0, s12
	s_subb_u32 s24, 0, s13
	v_madmk_f32 v0, v1, 0x4f800000, v0
	v_rcp_f32_e32 v0, v0
	v_mul_f32_e32 v0, 0x5f7ffffc, v0
	v_mul_f32_e32 v1, 0x2f800000, v0
	v_trunc_f32_e32 v1, v1
	v_madmk_f32 v0, v1, 0xcf800000, v0
	v_cvt_u32_f32_e32 v1, v1
	v_cvt_u32_f32_e32 v0, v0
	v_readfirstlane_b32 s25, v1
	v_readfirstlane_b32 s0, v0
	s_mul_i32 s1, s7, s25
	s_mul_hi_u32 s27, s7, s0
	s_mul_i32 s26, s24, s0
	s_add_i32 s1, s27, s1
	s_add_i32 s1, s1, s26
	s_mul_i32 s28, s7, s0
	s_mul_i32 s27, s0, s1
	s_mul_hi_u32 s29, s0, s28
	s_mul_hi_u32 s26, s0, s1
	s_add_u32 s27, s29, s27
	s_addc_u32 s26, 0, s26
	s_mul_hi_u32 s30, s25, s28
	s_mul_i32 s28, s25, s28
	s_add_u32 s27, s27, s28
	s_mul_hi_u32 s29, s25, s1
	s_addc_u32 s26, s26, s30
	s_addc_u32 s27, s29, 0
	s_mul_i32 s1, s25, s1
	s_add_u32 s1, s26, s1
	s_addc_u32 s26, 0, s27
	s_add_u32 s27, s0, s1
	s_cselect_b64 s[0:1], -1, 0
	s_cmp_lg_u64 s[0:1], 0
	s_addc_u32 s25, s25, s26
	s_mul_i32 s0, s7, s25
	s_mul_hi_u32 s1, s7, s27
	s_add_i32 s0, s1, s0
	s_mul_i32 s24, s24, s27
	s_add_i32 s0, s0, s24
	s_mul_i32 s7, s7, s27
	s_mul_hi_u32 s24, s25, s7
	s_mul_i32 s26, s25, s7
	s_mul_i32 s29, s27, s0
	s_mul_hi_u32 s7, s27, s7
	s_mul_hi_u32 s28, s27, s0
	s_add_u32 s7, s7, s29
	s_addc_u32 s28, 0, s28
	s_add_u32 s7, s7, s26
	s_mul_hi_u32 s1, s25, s0
	s_addc_u32 s7, s28, s24
	s_addc_u32 s1, s1, 0
	s_mul_i32 s0, s25, s0
	s_add_u32 s0, s7, s0
	s_addc_u32 s7, 0, s1
	s_add_u32 s24, s27, s0
	s_cselect_b64 s[0:1], -1, 0
	s_cmp_lg_u64 s[0:1], 0
	v_add_co_u32_e32 v0, vcc, v4, v10
	s_addc_u32 s7, s25, s7
	v_xor_b32_e32 v6, v0, v10
	v_mad_u64_u32 v[0:1], s[0:1], v6, s7, 0
	v_mul_hi_u32 v3, v6, s24
	v_addc_co_u32_e32 v2, vcc, v5, v10, vcc
	v_xor_b32_e32 v7, v2, v10
	v_add_co_u32_e32 v8, vcc, v3, v0
	v_addc_co_u32_e32 v9, vcc, 0, v1, vcc
	v_mad_u64_u32 v[0:1], s[0:1], v7, s24, 0
	v_mad_u64_u32 v[2:3], s[0:1], v7, s7, 0
	v_add_co_u32_e32 v0, vcc, v8, v0
	v_addc_co_u32_e32 v0, vcc, v9, v1, vcc
	v_addc_co_u32_e32 v1, vcc, 0, v3, vcc
	v_add_co_u32_e32 v2, vcc, v0, v2
	v_addc_co_u32_e32 v3, vcc, 0, v1, vcc
	v_mul_lo_u32 v8, s13, v2
	v_mul_lo_u32 v9, s12, v3
	v_mad_u64_u32 v[0:1], s[0:1], s12, v2, 0
	v_add3_u32 v1, v1, v9, v8
	v_sub_u32_e32 v8, v7, v1
	v_mov_b32_e32 v9, s13
	v_sub_co_u32_e32 v0, vcc, v6, v0
	v_subb_co_u32_e64 v6, s[0:1], v8, v9, vcc
	v_subrev_co_u32_e64 v8, s[0:1], s12, v0
	v_subbrev_co_u32_e64 v6, s[0:1], 0, v6, s[0:1]
	v_cmp_le_u32_e64 s[0:1], s13, v6
	v_cndmask_b32_e64 v9, 0, -1, s[0:1]
	v_cmp_le_u32_e64 s[0:1], s12, v8
	v_cndmask_b32_e64 v8, 0, -1, s[0:1]
	v_cmp_eq_u32_e64 s[0:1], s13, v6
	v_cndmask_b32_e64 v6, v9, v8, s[0:1]
	v_add_co_u32_e64 v8, s[0:1], 2, v2
	v_subb_co_u32_e32 v1, vcc, v7, v1, vcc
	v_addc_co_u32_e64 v9, s[0:1], 0, v3, s[0:1]
	v_cmp_le_u32_e32 vcc, s13, v1
	v_add_co_u32_e64 v11, s[0:1], 1, v2
	v_cndmask_b32_e64 v7, 0, -1, vcc
	v_cmp_le_u32_e32 vcc, s12, v0
	v_addc_co_u32_e64 v12, s[0:1], 0, v3, s[0:1]
	v_cndmask_b32_e64 v0, 0, -1, vcc
	v_cmp_eq_u32_e32 vcc, s13, v1
	v_cmp_ne_u32_e64 s[0:1], 0, v6
	v_cndmask_b32_e32 v0, v7, v0, vcc
	v_cndmask_b32_e64 v6, v12, v9, s[0:1]
	v_cmp_ne_u32_e32 vcc, 0, v0
	v_cndmask_b32_e64 v1, v11, v8, s[0:1]
	v_cndmask_b32_e32 v0, v3, v6, vcc
	v_cndmask_b32_e32 v1, v2, v1, vcc
	v_xor_b32_e32 v2, s6, v10
	v_xor_b32_e32 v3, v0, v2
	;; [unrolled: 1-line block ×3, first 2 shown]
	v_sub_co_u32_e32 v0, vcc, v0, v2
	v_subb_co_u32_e32 v1, vcc, v3, v2, vcc
.LBB5_3:
	s_andn2_saveexec_b64 s[0:1], s[2:3]
	s_cbranch_execz .LBB5_5
; %bb.4:
	v_cvt_f32_u32_e32 v0, s18
	s_sub_i32 s2, 0, s18
	v_rcp_iflag_f32_e32 v0, v0
	v_mul_f32_e32 v0, 0x4f7ffffe, v0
	v_cvt_u32_f32_e32 v0, v0
	v_mul_lo_u32 v1, s2, v0
	v_mul_hi_u32 v1, v0, v1
	v_add_u32_e32 v0, v0, v1
	v_mul_hi_u32 v0, v4, v0
	v_mul_lo_u32 v1, v0, s18
	v_add_u32_e32 v2, 1, v0
	v_sub_u32_e32 v1, v4, v1
	v_subrev_u32_e32 v3, s18, v1
	v_cmp_le_u32_e32 vcc, s18, v1
	v_cndmask_b32_e32 v1, v1, v3, vcc
	v_cndmask_b32_e32 v0, v0, v2, vcc
	v_add_u32_e32 v2, 1, v0
	v_cmp_le_u32_e32 vcc, s18, v1
	v_cndmask_b32_e32 v0, v0, v2, vcc
	v_mov_b32_e32 v1, 0
.LBB5_5:
	s_or_b64 exec, exec, s[0:1]
	v_mul_lo_u32 v6, s19, v0
	v_mul_lo_u32 v7, s18, v1
	v_mad_u64_u32 v[2:3], s[0:1], s18, v0, 0
	v_add3_u32 v3, v3, v7, v6
	v_sub_co_u32_e32 v6, vcc, v4, v2
	v_subb_co_u32_e32 v7, vcc, v5, v3, vcc
	v_or_b32_e32 v3, s17, v7
	v_mov_b32_e32 v2, 0
	v_cmp_ne_u64_e32 vcc, 0, v[2:3]
                                        ; implicit-def: $vgpr2_vgpr3
	s_and_saveexec_b64 s[0:1], vcc
	s_xor_b64 s[2:3], exec, s[0:1]
	s_cbranch_execz .LBB5_7
; %bb.6:
	s_ashr_i32 s6, s17, 31
	s_add_u32 s0, s16, s6
	s_mov_b32 s7, s6
	s_addc_u32 s1, s17, s6
	s_xor_b64 s[12:13], s[0:1], s[6:7]
	v_cvt_f32_u32_e32 v2, s12
	v_cvt_f32_u32_e32 v3, s13
	s_sub_u32 s7, 0, s12
	s_subb_u32 s18, 0, s13
	v_ashrrev_i32_e32 v11, 31, v7
	v_madmk_f32 v2, v3, 0x4f800000, v2
	v_rcp_f32_e32 v2, v2
	v_mul_f32_e32 v2, 0x5f7ffffc, v2
	v_mul_f32_e32 v3, 0x2f800000, v2
	v_trunc_f32_e32 v3, v3
	v_madmk_f32 v2, v3, 0xcf800000, v2
	v_cvt_u32_f32_e32 v3, v3
	v_cvt_u32_f32_e32 v2, v2
	v_readfirstlane_b32 s19, v3
	v_readfirstlane_b32 s0, v2
	s_mul_i32 s1, s7, s19
	s_mul_hi_u32 s25, s7, s0
	s_mul_i32 s24, s18, s0
	s_add_i32 s1, s25, s1
	s_add_i32 s1, s1, s24
	s_mul_i32 s26, s7, s0
	s_mul_i32 s25, s0, s1
	s_mul_hi_u32 s27, s0, s26
	s_mul_hi_u32 s24, s0, s1
	s_add_u32 s25, s27, s25
	s_addc_u32 s24, 0, s24
	s_mul_hi_u32 s28, s19, s26
	s_mul_i32 s26, s19, s26
	s_add_u32 s25, s25, s26
	s_mul_hi_u32 s27, s19, s1
	s_addc_u32 s24, s24, s28
	s_addc_u32 s25, s27, 0
	s_mul_i32 s1, s19, s1
	s_add_u32 s1, s24, s1
	s_addc_u32 s24, 0, s25
	s_add_u32 s25, s0, s1
	s_cselect_b64 s[0:1], -1, 0
	s_cmp_lg_u64 s[0:1], 0
	s_addc_u32 s19, s19, s24
	s_mul_i32 s0, s7, s19
	s_mul_hi_u32 s1, s7, s25
	s_add_i32 s0, s1, s0
	s_mul_i32 s18, s18, s25
	s_add_i32 s0, s0, s18
	s_mul_i32 s7, s7, s25
	s_mul_hi_u32 s18, s19, s7
	s_mul_i32 s24, s19, s7
	s_mul_i32 s27, s25, s0
	s_mul_hi_u32 s7, s25, s7
	s_mul_hi_u32 s26, s25, s0
	s_add_u32 s7, s7, s27
	s_addc_u32 s26, 0, s26
	s_add_u32 s7, s7, s24
	s_mul_hi_u32 s1, s19, s0
	s_addc_u32 s7, s26, s18
	s_addc_u32 s1, s1, 0
	s_mul_i32 s0, s19, s0
	s_add_u32 s0, s7, s0
	s_addc_u32 s7, 0, s1
	s_add_u32 s18, s25, s0
	s_cselect_b64 s[0:1], -1, 0
	s_cmp_lg_u64 s[0:1], 0
	v_add_co_u32_e32 v2, vcc, v6, v11
	s_addc_u32 s7, s19, s7
	v_xor_b32_e32 v12, v2, v11
	v_mad_u64_u32 v[2:3], s[0:1], v12, s7, 0
	v_mul_hi_u32 v9, v12, s18
	v_addc_co_u32_e32 v8, vcc, v7, v11, vcc
	v_xor_b32_e32 v13, v8, v11
	v_add_co_u32_e32 v14, vcc, v9, v2
	v_addc_co_u32_e32 v15, vcc, 0, v3, vcc
	v_mad_u64_u32 v[2:3], s[0:1], v13, s18, 0
	v_mad_u64_u32 v[8:9], s[0:1], v13, s7, 0
	v_add_co_u32_e32 v2, vcc, v14, v2
	v_addc_co_u32_e32 v2, vcc, v15, v3, vcc
	v_addc_co_u32_e32 v3, vcc, 0, v9, vcc
	v_add_co_u32_e32 v8, vcc, v2, v8
	v_addc_co_u32_e32 v9, vcc, 0, v3, vcc
	v_mul_lo_u32 v14, s13, v8
	v_mul_lo_u32 v15, s12, v9
	v_mad_u64_u32 v[2:3], s[0:1], s12, v8, 0
	v_add3_u32 v3, v3, v15, v14
	v_sub_u32_e32 v14, v13, v3
	v_mov_b32_e32 v15, s13
	v_sub_co_u32_e32 v2, vcc, v12, v2
	v_subb_co_u32_e64 v12, s[0:1], v14, v15, vcc
	v_subrev_co_u32_e64 v14, s[0:1], s12, v2
	v_subbrev_co_u32_e64 v12, s[0:1], 0, v12, s[0:1]
	v_cmp_le_u32_e64 s[0:1], s13, v12
	v_cndmask_b32_e64 v15, 0, -1, s[0:1]
	v_cmp_le_u32_e64 s[0:1], s12, v14
	v_cndmask_b32_e64 v14, 0, -1, s[0:1]
	v_cmp_eq_u32_e64 s[0:1], s13, v12
	v_cndmask_b32_e64 v12, v15, v14, s[0:1]
	v_add_co_u32_e64 v14, s[0:1], 2, v8
	v_subb_co_u32_e32 v3, vcc, v13, v3, vcc
	v_addc_co_u32_e64 v15, s[0:1], 0, v9, s[0:1]
	v_cmp_le_u32_e32 vcc, s13, v3
	v_add_co_u32_e64 v16, s[0:1], 1, v8
	v_cndmask_b32_e64 v13, 0, -1, vcc
	v_cmp_le_u32_e32 vcc, s12, v2
	v_addc_co_u32_e64 v17, s[0:1], 0, v9, s[0:1]
	v_cndmask_b32_e64 v2, 0, -1, vcc
	v_cmp_eq_u32_e32 vcc, s13, v3
	v_cmp_ne_u32_e64 s[0:1], 0, v12
	v_cndmask_b32_e32 v2, v13, v2, vcc
	v_cndmask_b32_e64 v12, v17, v15, s[0:1]
	v_cmp_ne_u32_e32 vcc, 0, v2
	v_cndmask_b32_e64 v3, v16, v14, s[0:1]
	v_cndmask_b32_e32 v2, v9, v12, vcc
	v_cndmask_b32_e32 v3, v8, v3, vcc
	v_xor_b32_e32 v8, s6, v11
	v_xor_b32_e32 v9, v2, v8
	;; [unrolled: 1-line block ×3, first 2 shown]
	v_sub_co_u32_e32 v2, vcc, v2, v8
	v_subb_co_u32_e32 v3, vcc, v9, v8, vcc
.LBB5_7:
	s_andn2_saveexec_b64 s[0:1], s[2:3]
	s_cbranch_execz .LBB5_9
; %bb.8:
	v_cvt_f32_u32_e32 v2, s16
	s_sub_i32 s2, 0, s16
	v_rcp_iflag_f32_e32 v2, v2
	v_mul_f32_e32 v2, 0x4f7ffffe, v2
	v_cvt_u32_f32_e32 v2, v2
	v_mul_lo_u32 v3, s2, v2
	v_mul_hi_u32 v3, v2, v3
	v_add_u32_e32 v2, v2, v3
	v_mul_hi_u32 v2, v6, v2
	v_mul_lo_u32 v3, v2, s16
	v_add_u32_e32 v8, 1, v2
	v_sub_u32_e32 v3, v6, v3
	v_subrev_u32_e32 v9, s16, v3
	v_cmp_le_u32_e32 vcc, s16, v3
	v_cndmask_b32_e32 v3, v3, v9, vcc
	v_cndmask_b32_e32 v2, v2, v8, vcc
	v_add_u32_e32 v8, 1, v2
	v_cmp_le_u32_e32 vcc, s16, v3
	v_cndmask_b32_e32 v2, v2, v8, vcc
	v_mov_b32_e32 v3, 0
.LBB5_9:
	s_or_b64 exec, exec, s[0:1]
	v_mul_lo_u32 v11, s17, v2
	v_mul_lo_u32 v12, s16, v3
	v_mad_u64_u32 v[8:9], s[0:1], s16, v2, 0
	v_add3_u32 v9, v9, v12, v11
	v_sub_co_u32_e32 v12, vcc, v6, v8
	v_subb_co_u32_e32 v13, vcc, v7, v9, vcc
	v_or_b32_e32 v7, s15, v13
	v_mov_b32_e32 v6, 0
	v_cmp_ne_u64_e32 vcc, 0, v[6:7]
                                        ; implicit-def: $vgpr6_vgpr7
	s_and_saveexec_b64 s[0:1], vcc
	s_xor_b64 s[2:3], exec, s[0:1]
	s_cbranch_execz .LBB5_11
; %bb.10:
	s_ashr_i32 s6, s15, 31
	s_add_u32 s0, s14, s6
	s_mov_b32 s7, s6
	s_addc_u32 s1, s15, s6
	s_xor_b64 s[12:13], s[0:1], s[6:7]
	v_cvt_f32_u32_e32 v6, s12
	v_cvt_f32_u32_e32 v7, s13
	s_sub_u32 s7, 0, s12
	s_subb_u32 s16, 0, s13
	v_ashrrev_i32_e32 v11, 31, v13
	v_madmk_f32 v6, v7, 0x4f800000, v6
	v_rcp_f32_e32 v6, v6
	v_mul_f32_e32 v6, 0x5f7ffffc, v6
	v_mul_f32_e32 v7, 0x2f800000, v6
	v_trunc_f32_e32 v7, v7
	v_madmk_f32 v6, v7, 0xcf800000, v6
	v_cvt_u32_f32_e32 v7, v7
	v_cvt_u32_f32_e32 v6, v6
	v_readfirstlane_b32 s17, v7
	v_readfirstlane_b32 s0, v6
	s_mul_i32 s1, s7, s17
	s_mul_hi_u32 s19, s7, s0
	s_mul_i32 s18, s16, s0
	s_add_i32 s1, s19, s1
	s_add_i32 s1, s1, s18
	s_mul_i32 s24, s7, s0
	s_mul_i32 s19, s0, s1
	s_mul_hi_u32 s25, s0, s24
	s_mul_hi_u32 s18, s0, s1
	s_add_u32 s19, s25, s19
	s_addc_u32 s18, 0, s18
	s_mul_hi_u32 s26, s17, s24
	s_mul_i32 s24, s17, s24
	s_add_u32 s19, s19, s24
	s_mul_hi_u32 s25, s17, s1
	s_addc_u32 s18, s18, s26
	s_addc_u32 s19, s25, 0
	s_mul_i32 s1, s17, s1
	s_add_u32 s1, s18, s1
	s_addc_u32 s18, 0, s19
	s_add_u32 s19, s0, s1
	s_cselect_b64 s[0:1], -1, 0
	s_cmp_lg_u64 s[0:1], 0
	s_addc_u32 s17, s17, s18
	s_mul_i32 s0, s7, s17
	s_mul_hi_u32 s1, s7, s19
	s_add_i32 s0, s1, s0
	s_mul_i32 s16, s16, s19
	s_add_i32 s0, s0, s16
	s_mul_i32 s7, s7, s19
	s_mul_hi_u32 s16, s17, s7
	s_mul_i32 s18, s17, s7
	s_mul_i32 s25, s19, s0
	s_mul_hi_u32 s7, s19, s7
	s_mul_hi_u32 s24, s19, s0
	s_add_u32 s7, s7, s25
	s_addc_u32 s24, 0, s24
	s_add_u32 s7, s7, s18
	s_mul_hi_u32 s1, s17, s0
	s_addc_u32 s7, s24, s16
	s_addc_u32 s1, s1, 0
	s_mul_i32 s0, s17, s0
	s_add_u32 s0, s7, s0
	s_addc_u32 s7, 0, s1
	s_add_u32 s16, s19, s0
	s_cselect_b64 s[0:1], -1, 0
	s_cmp_lg_u64 s[0:1], 0
	v_add_co_u32_e32 v6, vcc, v12, v11
	s_addc_u32 s7, s17, s7
	v_xor_b32_e32 v14, v6, v11
	v_mad_u64_u32 v[6:7], s[0:1], v14, s7, 0
	v_mul_hi_u32 v9, v14, s16
	v_addc_co_u32_e32 v8, vcc, v13, v11, vcc
	v_xor_b32_e32 v15, v8, v11
	v_add_co_u32_e32 v16, vcc, v9, v6
	v_addc_co_u32_e32 v17, vcc, 0, v7, vcc
	v_mad_u64_u32 v[6:7], s[0:1], v15, s16, 0
	v_mad_u64_u32 v[8:9], s[0:1], v15, s7, 0
	v_add_co_u32_e32 v6, vcc, v16, v6
	v_addc_co_u32_e32 v6, vcc, v17, v7, vcc
	v_addc_co_u32_e32 v7, vcc, 0, v9, vcc
	v_add_co_u32_e32 v8, vcc, v6, v8
	v_addc_co_u32_e32 v9, vcc, 0, v7, vcc
	v_mul_lo_u32 v16, s13, v8
	v_mul_lo_u32 v17, s12, v9
	v_mad_u64_u32 v[6:7], s[0:1], s12, v8, 0
	v_add3_u32 v7, v7, v17, v16
	v_sub_u32_e32 v16, v15, v7
	v_mov_b32_e32 v17, s13
	v_sub_co_u32_e32 v6, vcc, v14, v6
	v_subb_co_u32_e64 v14, s[0:1], v16, v17, vcc
	v_subrev_co_u32_e64 v16, s[0:1], s12, v6
	v_subbrev_co_u32_e64 v14, s[0:1], 0, v14, s[0:1]
	v_cmp_le_u32_e64 s[0:1], s13, v14
	v_cndmask_b32_e64 v17, 0, -1, s[0:1]
	v_cmp_le_u32_e64 s[0:1], s12, v16
	v_cndmask_b32_e64 v16, 0, -1, s[0:1]
	v_cmp_eq_u32_e64 s[0:1], s13, v14
	v_cndmask_b32_e64 v14, v17, v16, s[0:1]
	v_add_co_u32_e64 v16, s[0:1], 2, v8
	v_subb_co_u32_e32 v7, vcc, v15, v7, vcc
	v_addc_co_u32_e64 v17, s[0:1], 0, v9, s[0:1]
	v_cmp_le_u32_e32 vcc, s13, v7
	v_add_co_u32_e64 v18, s[0:1], 1, v8
	v_cndmask_b32_e64 v15, 0, -1, vcc
	v_cmp_le_u32_e32 vcc, s12, v6
	v_addc_co_u32_e64 v19, s[0:1], 0, v9, s[0:1]
	v_cndmask_b32_e64 v6, 0, -1, vcc
	v_cmp_eq_u32_e32 vcc, s13, v7
	v_cmp_ne_u32_e64 s[0:1], 0, v14
	v_cndmask_b32_e32 v6, v15, v6, vcc
	v_cndmask_b32_e64 v14, v19, v17, s[0:1]
	v_cmp_ne_u32_e32 vcc, 0, v6
	v_cndmask_b32_e64 v7, v18, v16, s[0:1]
	v_cndmask_b32_e32 v6, v9, v14, vcc
	v_cndmask_b32_e32 v7, v8, v7, vcc
	v_xor_b32_e32 v8, s6, v11
	v_xor_b32_e32 v9, v6, v8
	;; [unrolled: 1-line block ×3, first 2 shown]
	v_sub_co_u32_e32 v6, vcc, v6, v8
	v_subb_co_u32_e32 v7, vcc, v9, v8, vcc
.LBB5_11:
	s_andn2_saveexec_b64 s[0:1], s[2:3]
	s_cbranch_execz .LBB5_13
; %bb.12:
	v_cvt_f32_u32_e32 v6, s14
	s_sub_i32 s2, 0, s14
	v_rcp_iflag_f32_e32 v6, v6
	v_mul_f32_e32 v6, 0x4f7ffffe, v6
	v_cvt_u32_f32_e32 v6, v6
	v_mul_lo_u32 v7, s2, v6
	v_mul_hi_u32 v7, v6, v7
	v_add_u32_e32 v6, v6, v7
	v_mul_hi_u32 v6, v12, v6
	v_mul_lo_u32 v7, v6, s14
	v_add_u32_e32 v8, 1, v6
	v_sub_u32_e32 v7, v12, v7
	v_subrev_u32_e32 v9, s14, v7
	v_cmp_le_u32_e32 vcc, s14, v7
	v_cndmask_b32_e32 v7, v7, v9, vcc
	v_cndmask_b32_e32 v6, v6, v8, vcc
	v_add_u32_e32 v8, 1, v6
	v_cmp_le_u32_e32 vcc, s14, v7
	v_cndmask_b32_e32 v6, v6, v8, vcc
	v_mov_b32_e32 v7, 0
.LBB5_13:
	s_or_b64 exec, exec, s[0:1]
	s_load_dwordx16 s[36:51], s[4:5], 0x40
	v_mov_b32_e32 v8, 0
	s_waitcnt lgkmcnt(0)
	s_mul_i32 s0, s42, s41
	s_mul_hi_u32 s1, s42, s40
	s_mul_i32 s2, s43, s40
	s_mul_i32 s16, s42, s40
	s_add_i32 s17, s1, s0
	s_mul_i32 s0, s16, s45
	s_add_i32 s17, s17, s2
	s_mul_hi_u32 s1, s16, s44
	s_add_i32 s0, s1, s0
	s_mul_i32 s1, s17, s44
	s_add_i32 s18, s0, s1
	v_or_b32_e32 v9, s18, v5
	v_cmp_ne_u64_e32 vcc, 0, v[8:9]
	s_mul_i32 s19, s16, s44
                                        ; implicit-def: $vgpr8_vgpr9
	s_and_saveexec_b64 s[0:1], vcc
	s_xor_b64 s[2:3], exec, s[0:1]
	s_cbranch_execz .LBB5_15
; %bb.14:
	s_ashr_i32 s6, s18, 31
	s_add_u32 s0, s19, s6
	s_mov_b32 s7, s6
	s_addc_u32 s1, s18, s6
	s_xor_b64 s[12:13], s[0:1], s[6:7]
	v_cvt_f32_u32_e32 v8, s12
	v_cvt_f32_u32_e32 v9, s13
	s_sub_u32 s7, 0, s12
	s_subb_u32 s24, 0, s13
	v_madmk_f32 v8, v9, 0x4f800000, v8
	v_rcp_f32_e32 v8, v8
	v_mul_f32_e32 v8, 0x5f7ffffc, v8
	v_mul_f32_e32 v9, 0x2f800000, v8
	v_trunc_f32_e32 v9, v9
	v_madmk_f32 v8, v9, 0xcf800000, v8
	v_cvt_u32_f32_e32 v9, v9
	v_cvt_u32_f32_e32 v8, v8
	v_readfirstlane_b32 s25, v9
	v_readfirstlane_b32 s0, v8
	s_mul_i32 s1, s7, s25
	s_mul_hi_u32 s27, s7, s0
	s_mul_i32 s26, s24, s0
	s_add_i32 s1, s27, s1
	s_add_i32 s1, s1, s26
	s_mul_i32 s28, s7, s0
	s_mul_i32 s27, s0, s1
	s_mul_hi_u32 s29, s0, s28
	s_mul_hi_u32 s26, s0, s1
	s_add_u32 s27, s29, s27
	s_addc_u32 s26, 0, s26
	s_mul_hi_u32 s30, s25, s28
	s_mul_i32 s28, s25, s28
	s_add_u32 s27, s27, s28
	s_mul_hi_u32 s29, s25, s1
	s_addc_u32 s26, s26, s30
	s_addc_u32 s27, s29, 0
	s_mul_i32 s1, s25, s1
	s_add_u32 s1, s26, s1
	s_addc_u32 s26, 0, s27
	s_add_u32 s27, s0, s1
	s_cselect_b64 s[0:1], -1, 0
	s_cmp_lg_u64 s[0:1], 0
	s_addc_u32 s25, s25, s26
	s_mul_i32 s0, s7, s25
	s_mul_hi_u32 s1, s7, s27
	s_add_i32 s0, s1, s0
	s_mul_i32 s24, s24, s27
	s_add_i32 s0, s0, s24
	s_mul_i32 s7, s7, s27
	s_mul_hi_u32 s24, s25, s7
	s_mul_i32 s26, s25, s7
	s_mul_i32 s29, s27, s0
	s_mul_hi_u32 s7, s27, s7
	s_mul_hi_u32 s28, s27, s0
	s_add_u32 s7, s7, s29
	s_addc_u32 s28, 0, s28
	s_add_u32 s7, s7, s26
	s_mul_hi_u32 s1, s25, s0
	s_addc_u32 s7, s28, s24
	s_addc_u32 s1, s1, 0
	s_mul_i32 s0, s25, s0
	s_add_u32 s0, s7, s0
	s_addc_u32 s7, 0, s1
	s_add_u32 s24, s27, s0
	s_cselect_b64 s[0:1], -1, 0
	s_cmp_lg_u64 s[0:1], 0
	v_add_co_u32_e32 v8, vcc, v4, v10
	s_addc_u32 s7, s25, s7
	v_xor_b32_e32 v16, v8, v10
	v_mad_u64_u32 v[8:9], s[0:1], v16, s7, 0
	v_mul_hi_u32 v14, v16, s24
	v_addc_co_u32_e32 v11, vcc, v5, v10, vcc
	v_xor_b32_e32 v11, v11, v10
	v_add_co_u32_e32 v17, vcc, v14, v8
	v_addc_co_u32_e32 v18, vcc, 0, v9, vcc
	v_mad_u64_u32 v[8:9], s[0:1], v11, s24, 0
	v_mad_u64_u32 v[14:15], s[0:1], v11, s7, 0
	v_add_co_u32_e32 v8, vcc, v17, v8
	v_addc_co_u32_e32 v8, vcc, v18, v9, vcc
	v_addc_co_u32_e32 v9, vcc, 0, v15, vcc
	v_add_co_u32_e32 v14, vcc, v8, v14
	v_addc_co_u32_e32 v15, vcc, 0, v9, vcc
	v_mul_lo_u32 v17, s13, v14
	v_mul_lo_u32 v18, s12, v15
	v_mad_u64_u32 v[8:9], s[0:1], s12, v14, 0
	v_xor_b32_e32 v10, s6, v10
	v_add3_u32 v9, v9, v18, v17
	v_sub_u32_e32 v17, v11, v9
	v_mov_b32_e32 v18, s13
	v_sub_co_u32_e32 v8, vcc, v16, v8
	v_subb_co_u32_e64 v16, s[0:1], v17, v18, vcc
	v_subrev_co_u32_e64 v17, s[0:1], s12, v8
	v_subbrev_co_u32_e64 v16, s[0:1], 0, v16, s[0:1]
	v_cmp_le_u32_e64 s[0:1], s13, v16
	v_cndmask_b32_e64 v18, 0, -1, s[0:1]
	v_cmp_le_u32_e64 s[0:1], s12, v17
	v_cndmask_b32_e64 v17, 0, -1, s[0:1]
	v_cmp_eq_u32_e64 s[0:1], s13, v16
	v_cndmask_b32_e64 v16, v18, v17, s[0:1]
	v_add_co_u32_e64 v17, s[0:1], 2, v14
	v_subb_co_u32_e32 v9, vcc, v11, v9, vcc
	v_addc_co_u32_e64 v18, s[0:1], 0, v15, s[0:1]
	v_cmp_le_u32_e32 vcc, s13, v9
	v_add_co_u32_e64 v19, s[0:1], 1, v14
	v_cndmask_b32_e64 v11, 0, -1, vcc
	v_cmp_le_u32_e32 vcc, s12, v8
	v_addc_co_u32_e64 v20, s[0:1], 0, v15, s[0:1]
	v_cndmask_b32_e64 v8, 0, -1, vcc
	v_cmp_eq_u32_e32 vcc, s13, v9
	v_cmp_ne_u32_e64 s[0:1], 0, v16
	v_cndmask_b32_e32 v8, v11, v8, vcc
	v_cndmask_b32_e64 v16, v20, v18, s[0:1]
	v_cmp_ne_u32_e32 vcc, 0, v8
	v_cndmask_b32_e64 v9, v19, v17, s[0:1]
	v_cndmask_b32_e32 v8, v15, v16, vcc
	v_cndmask_b32_e32 v9, v14, v9, vcc
	v_xor_b32_e32 v11, v8, v10
	v_xor_b32_e32 v8, v9, v10
	v_sub_co_u32_e32 v8, vcc, v8, v10
	v_subb_co_u32_e32 v9, vcc, v11, v10, vcc
.LBB5_15:
	s_andn2_saveexec_b64 s[0:1], s[2:3]
	s_cbranch_execz .LBB5_17
; %bb.16:
	v_cvt_f32_u32_e32 v8, s19
	s_sub_i32 s2, 0, s19
	v_rcp_iflag_f32_e32 v8, v8
	v_mul_f32_e32 v8, 0x4f7ffffe, v8
	v_cvt_u32_f32_e32 v8, v8
	v_mul_lo_u32 v9, s2, v8
	v_mul_hi_u32 v9, v8, v9
	v_add_u32_e32 v8, v8, v9
	v_mul_hi_u32 v8, v4, v8
	v_mul_lo_u32 v9, v8, s19
	v_add_u32_e32 v10, 1, v8
	v_sub_u32_e32 v9, v4, v9
	v_subrev_u32_e32 v11, s19, v9
	v_cmp_le_u32_e32 vcc, s19, v9
	v_cndmask_b32_e32 v9, v9, v11, vcc
	v_cndmask_b32_e32 v8, v8, v10, vcc
	v_add_u32_e32 v10, 1, v8
	v_cmp_le_u32_e32 vcc, s19, v9
	v_cndmask_b32_e32 v8, v8, v10, vcc
	v_mov_b32_e32 v9, 0
.LBB5_17:
	s_or_b64 exec, exec, s[0:1]
	v_mul_lo_u32 v14, s18, v8
	v_mul_lo_u32 v15, s19, v9
	v_mad_u64_u32 v[10:11], s[0:1], s19, v8, 0
	v_add3_u32 v11, v11, v15, v14
	v_sub_co_u32_e32 v10, vcc, v4, v10
	v_subb_co_u32_e32 v11, vcc, v5, v11, vcc
	v_or_b32_e32 v5, s17, v11
	v_mov_b32_e32 v4, 0
	v_cmp_ne_u64_e32 vcc, 0, v[4:5]
                                        ; implicit-def: $vgpr4_vgpr5
	s_and_saveexec_b64 s[0:1], vcc
	s_xor_b64 s[2:3], exec, s[0:1]
	s_cbranch_execz .LBB5_19
; %bb.18:
	s_ashr_i32 s6, s17, 31
	s_add_u32 s0, s16, s6
	s_mov_b32 s7, s6
	s_addc_u32 s1, s17, s6
	s_xor_b64 s[12:13], s[0:1], s[6:7]
	v_cvt_f32_u32_e32 v4, s12
	v_cvt_f32_u32_e32 v5, s13
	s_sub_u32 s7, 0, s12
	s_subb_u32 s18, 0, s13
	v_ashrrev_i32_e32 v16, 31, v11
	v_madmk_f32 v4, v5, 0x4f800000, v4
	v_rcp_f32_e32 v4, v4
	v_mul_f32_e32 v4, 0x5f7ffffc, v4
	v_mul_f32_e32 v5, 0x2f800000, v4
	v_trunc_f32_e32 v5, v5
	v_madmk_f32 v4, v5, 0xcf800000, v4
	v_cvt_u32_f32_e32 v5, v5
	v_cvt_u32_f32_e32 v4, v4
	v_readfirstlane_b32 s19, v5
	v_readfirstlane_b32 s0, v4
	s_mul_i32 s1, s7, s19
	s_mul_hi_u32 s25, s7, s0
	s_mul_i32 s24, s18, s0
	s_add_i32 s1, s25, s1
	s_add_i32 s1, s1, s24
	s_mul_i32 s26, s7, s0
	s_mul_i32 s25, s0, s1
	s_mul_hi_u32 s27, s0, s26
	s_mul_hi_u32 s24, s0, s1
	s_add_u32 s25, s27, s25
	s_addc_u32 s24, 0, s24
	s_mul_hi_u32 s28, s19, s26
	s_mul_i32 s26, s19, s26
	s_add_u32 s25, s25, s26
	s_mul_hi_u32 s27, s19, s1
	s_addc_u32 s24, s24, s28
	s_addc_u32 s25, s27, 0
	s_mul_i32 s1, s19, s1
	s_add_u32 s1, s24, s1
	s_addc_u32 s24, 0, s25
	s_add_u32 s25, s0, s1
	s_cselect_b64 s[0:1], -1, 0
	s_cmp_lg_u64 s[0:1], 0
	s_addc_u32 s19, s19, s24
	s_mul_i32 s0, s7, s19
	s_mul_hi_u32 s1, s7, s25
	s_add_i32 s0, s1, s0
	s_mul_i32 s18, s18, s25
	s_add_i32 s0, s0, s18
	s_mul_i32 s7, s7, s25
	s_mul_hi_u32 s18, s19, s7
	s_mul_i32 s24, s19, s7
	s_mul_i32 s27, s25, s0
	s_mul_hi_u32 s7, s25, s7
	s_mul_hi_u32 s26, s25, s0
	s_add_u32 s7, s7, s27
	s_addc_u32 s26, 0, s26
	s_add_u32 s7, s7, s24
	s_mul_hi_u32 s1, s19, s0
	s_addc_u32 s7, s26, s18
	s_addc_u32 s1, s1, 0
	s_mul_i32 s0, s19, s0
	s_add_u32 s0, s7, s0
	s_addc_u32 s7, 0, s1
	s_add_u32 s18, s25, s0
	s_cselect_b64 s[0:1], -1, 0
	s_cmp_lg_u64 s[0:1], 0
	v_add_co_u32_e32 v4, vcc, v10, v16
	s_addc_u32 s7, s19, s7
	v_xor_b32_e32 v17, v4, v16
	v_mad_u64_u32 v[4:5], s[0:1], v17, s7, 0
	v_mul_hi_u32 v15, v17, s18
	v_addc_co_u32_e32 v14, vcc, v11, v16, vcc
	v_xor_b32_e32 v18, v14, v16
	v_add_co_u32_e32 v19, vcc, v15, v4
	v_addc_co_u32_e32 v20, vcc, 0, v5, vcc
	v_mad_u64_u32 v[4:5], s[0:1], v18, s18, 0
	v_mad_u64_u32 v[14:15], s[0:1], v18, s7, 0
	v_add_co_u32_e32 v4, vcc, v19, v4
	v_addc_co_u32_e32 v4, vcc, v20, v5, vcc
	v_addc_co_u32_e32 v5, vcc, 0, v15, vcc
	v_add_co_u32_e32 v14, vcc, v4, v14
	v_addc_co_u32_e32 v15, vcc, 0, v5, vcc
	v_mul_lo_u32 v19, s13, v14
	v_mul_lo_u32 v20, s12, v15
	v_mad_u64_u32 v[4:5], s[0:1], s12, v14, 0
	v_add3_u32 v5, v5, v20, v19
	v_sub_u32_e32 v19, v18, v5
	v_mov_b32_e32 v20, s13
	v_sub_co_u32_e32 v4, vcc, v17, v4
	v_subb_co_u32_e64 v17, s[0:1], v19, v20, vcc
	v_subrev_co_u32_e64 v19, s[0:1], s12, v4
	v_subbrev_co_u32_e64 v17, s[0:1], 0, v17, s[0:1]
	v_cmp_le_u32_e64 s[0:1], s13, v17
	v_cndmask_b32_e64 v20, 0, -1, s[0:1]
	v_cmp_le_u32_e64 s[0:1], s12, v19
	v_cndmask_b32_e64 v19, 0, -1, s[0:1]
	v_cmp_eq_u32_e64 s[0:1], s13, v17
	v_cndmask_b32_e64 v17, v20, v19, s[0:1]
	v_add_co_u32_e64 v19, s[0:1], 2, v14
	v_subb_co_u32_e32 v5, vcc, v18, v5, vcc
	v_addc_co_u32_e64 v20, s[0:1], 0, v15, s[0:1]
	v_cmp_le_u32_e32 vcc, s13, v5
	v_add_co_u32_e64 v21, s[0:1], 1, v14
	v_cndmask_b32_e64 v18, 0, -1, vcc
	v_cmp_le_u32_e32 vcc, s12, v4
	v_addc_co_u32_e64 v22, s[0:1], 0, v15, s[0:1]
	v_cndmask_b32_e64 v4, 0, -1, vcc
	v_cmp_eq_u32_e32 vcc, s13, v5
	v_cmp_ne_u32_e64 s[0:1], 0, v17
	v_cndmask_b32_e32 v4, v18, v4, vcc
	v_cndmask_b32_e64 v17, v22, v20, s[0:1]
	v_cmp_ne_u32_e32 vcc, 0, v4
	v_cndmask_b32_e64 v5, v21, v19, s[0:1]
	v_cndmask_b32_e32 v4, v15, v17, vcc
	v_cndmask_b32_e32 v5, v14, v5, vcc
	v_xor_b32_e32 v14, s6, v16
	v_xor_b32_e32 v15, v4, v14
	;; [unrolled: 1-line block ×3, first 2 shown]
	v_sub_co_u32_e32 v4, vcc, v4, v14
	v_subb_co_u32_e32 v5, vcc, v15, v14, vcc
.LBB5_19:
	s_andn2_saveexec_b64 s[0:1], s[2:3]
	s_cbranch_execz .LBB5_21
; %bb.20:
	v_cvt_f32_u32_e32 v4, s16
	s_sub_i32 s2, 0, s16
	v_rcp_iflag_f32_e32 v4, v4
	v_mul_f32_e32 v4, 0x4f7ffffe, v4
	v_cvt_u32_f32_e32 v4, v4
	v_mul_lo_u32 v5, s2, v4
	v_mul_hi_u32 v5, v4, v5
	v_add_u32_e32 v4, v4, v5
	v_mul_hi_u32 v4, v10, v4
	v_mul_lo_u32 v5, v4, s16
	v_add_u32_e32 v14, 1, v4
	v_sub_u32_e32 v5, v10, v5
	v_subrev_u32_e32 v15, s16, v5
	v_cmp_le_u32_e32 vcc, s16, v5
	v_cndmask_b32_e32 v5, v5, v15, vcc
	v_cndmask_b32_e32 v4, v4, v14, vcc
	v_add_u32_e32 v14, 1, v4
	v_cmp_le_u32_e32 vcc, s16, v5
	v_cndmask_b32_e32 v4, v4, v14, vcc
	v_mov_b32_e32 v5, 0
.LBB5_21:
	s_or_b64 exec, exec, s[0:1]
	v_mul_lo_u32 v16, s17, v4
	v_mul_lo_u32 v17, s16, v5
	v_mad_u64_u32 v[14:15], s[0:1], s16, v4, 0
	v_add3_u32 v15, v15, v17, v16
	v_sub_co_u32_e32 v14, vcc, v10, v14
	v_subb_co_u32_e32 v15, vcc, v11, v15, vcc
	v_or_b32_e32 v11, s41, v15
	v_mov_b32_e32 v10, 0
	v_cmp_ne_u64_e32 vcc, 0, v[10:11]
                                        ; implicit-def: $vgpr10_vgpr11
	s_and_saveexec_b64 s[0:1], vcc
	s_xor_b64 s[2:3], exec, s[0:1]
	s_cbranch_execz .LBB5_23
; %bb.22:
	s_ashr_i32 s6, s41, 31
	s_add_u32 s0, s40, s6
	s_mov_b32 s7, s6
	s_addc_u32 s1, s41, s6
	s_xor_b64 s[12:13], s[0:1], s[6:7]
	v_cvt_f32_u32_e32 v10, s12
	v_cvt_f32_u32_e32 v11, s13
	s_sub_u32 s7, 0, s12
	s_subb_u32 s16, 0, s13
	v_ashrrev_i32_e32 v18, 31, v15
	v_madmk_f32 v10, v11, 0x4f800000, v10
	v_rcp_f32_e32 v10, v10
	v_mul_f32_e32 v10, 0x5f7ffffc, v10
	v_mul_f32_e32 v11, 0x2f800000, v10
	v_trunc_f32_e32 v11, v11
	v_madmk_f32 v10, v11, 0xcf800000, v10
	v_cvt_u32_f32_e32 v11, v11
	v_cvt_u32_f32_e32 v10, v10
	v_readfirstlane_b32 s17, v11
	v_readfirstlane_b32 s0, v10
	s_mul_i32 s1, s7, s17
	s_mul_hi_u32 s19, s7, s0
	s_mul_i32 s18, s16, s0
	s_add_i32 s1, s19, s1
	s_add_i32 s1, s1, s18
	s_mul_i32 s24, s7, s0
	s_mul_i32 s19, s0, s1
	s_mul_hi_u32 s25, s0, s24
	s_mul_hi_u32 s18, s0, s1
	s_add_u32 s19, s25, s19
	s_addc_u32 s18, 0, s18
	s_mul_hi_u32 s26, s17, s24
	s_mul_i32 s24, s17, s24
	s_add_u32 s19, s19, s24
	s_mul_hi_u32 s25, s17, s1
	s_addc_u32 s18, s18, s26
	s_addc_u32 s19, s25, 0
	s_mul_i32 s1, s17, s1
	s_add_u32 s1, s18, s1
	s_addc_u32 s18, 0, s19
	s_add_u32 s19, s0, s1
	s_cselect_b64 s[0:1], -1, 0
	s_cmp_lg_u64 s[0:1], 0
	s_addc_u32 s17, s17, s18
	s_mul_i32 s0, s7, s17
	s_mul_hi_u32 s1, s7, s19
	s_add_i32 s0, s1, s0
	s_mul_i32 s16, s16, s19
	s_add_i32 s0, s0, s16
	s_mul_i32 s7, s7, s19
	s_mul_hi_u32 s16, s17, s7
	s_mul_i32 s18, s17, s7
	s_mul_i32 s25, s19, s0
	s_mul_hi_u32 s7, s19, s7
	s_mul_hi_u32 s24, s19, s0
	s_add_u32 s7, s7, s25
	s_addc_u32 s24, 0, s24
	s_add_u32 s7, s7, s18
	s_mul_hi_u32 s1, s17, s0
	s_addc_u32 s7, s24, s16
	s_addc_u32 s1, s1, 0
	s_mul_i32 s0, s17, s0
	s_add_u32 s0, s7, s0
	s_addc_u32 s7, 0, s1
	s_add_u32 s16, s19, s0
	s_cselect_b64 s[0:1], -1, 0
	s_cmp_lg_u64 s[0:1], 0
	v_add_co_u32_e32 v10, vcc, v14, v18
	s_addc_u32 s7, s17, s7
	v_xor_b32_e32 v19, v10, v18
	v_mad_u64_u32 v[10:11], s[0:1], v19, s7, 0
	v_mul_hi_u32 v17, v19, s16
	v_addc_co_u32_e32 v16, vcc, v15, v18, vcc
	v_xor_b32_e32 v20, v16, v18
	v_add_co_u32_e32 v21, vcc, v17, v10
	v_addc_co_u32_e32 v22, vcc, 0, v11, vcc
	v_mad_u64_u32 v[10:11], s[0:1], v20, s16, 0
	v_mad_u64_u32 v[16:17], s[0:1], v20, s7, 0
	v_add_co_u32_e32 v10, vcc, v21, v10
	v_addc_co_u32_e32 v10, vcc, v22, v11, vcc
	v_addc_co_u32_e32 v11, vcc, 0, v17, vcc
	v_add_co_u32_e32 v16, vcc, v10, v16
	v_addc_co_u32_e32 v17, vcc, 0, v11, vcc
	v_mul_lo_u32 v21, s13, v16
	v_mul_lo_u32 v22, s12, v17
	v_mad_u64_u32 v[10:11], s[0:1], s12, v16, 0
	v_add3_u32 v11, v11, v22, v21
	v_sub_u32_e32 v21, v20, v11
	v_mov_b32_e32 v22, s13
	v_sub_co_u32_e32 v10, vcc, v19, v10
	v_subb_co_u32_e64 v19, s[0:1], v21, v22, vcc
	v_subrev_co_u32_e64 v21, s[0:1], s12, v10
	v_subbrev_co_u32_e64 v19, s[0:1], 0, v19, s[0:1]
	v_cmp_le_u32_e64 s[0:1], s13, v19
	v_cndmask_b32_e64 v22, 0, -1, s[0:1]
	v_cmp_le_u32_e64 s[0:1], s12, v21
	v_cndmask_b32_e64 v21, 0, -1, s[0:1]
	v_cmp_eq_u32_e64 s[0:1], s13, v19
	v_cndmask_b32_e64 v19, v22, v21, s[0:1]
	v_add_co_u32_e64 v21, s[0:1], 2, v16
	v_subb_co_u32_e32 v11, vcc, v20, v11, vcc
	v_addc_co_u32_e64 v22, s[0:1], 0, v17, s[0:1]
	v_cmp_le_u32_e32 vcc, s13, v11
	v_add_co_u32_e64 v23, s[0:1], 1, v16
	v_cndmask_b32_e64 v20, 0, -1, vcc
	v_cmp_le_u32_e32 vcc, s12, v10
	v_addc_co_u32_e64 v24, s[0:1], 0, v17, s[0:1]
	v_cndmask_b32_e64 v10, 0, -1, vcc
	v_cmp_eq_u32_e32 vcc, s13, v11
	v_cmp_ne_u32_e64 s[0:1], 0, v19
	v_cndmask_b32_e32 v10, v20, v10, vcc
	v_cndmask_b32_e64 v19, v24, v22, s[0:1]
	v_cmp_ne_u32_e32 vcc, 0, v10
	v_cndmask_b32_e64 v11, v23, v21, s[0:1]
	v_cndmask_b32_e32 v10, v17, v19, vcc
	v_cndmask_b32_e32 v11, v16, v11, vcc
	v_xor_b32_e32 v16, s6, v18
	v_xor_b32_e32 v17, v10, v16
	;; [unrolled: 1-line block ×3, first 2 shown]
	v_sub_co_u32_e32 v10, vcc, v10, v16
	v_subb_co_u32_e32 v11, vcc, v17, v16, vcc
.LBB5_23:
	s_andn2_saveexec_b64 s[0:1], s[2:3]
	s_cbranch_execz .LBB5_25
; %bb.24:
	v_cvt_f32_u32_e32 v10, s40
	s_sub_i32 s2, 0, s40
	v_rcp_iflag_f32_e32 v10, v10
	v_mul_f32_e32 v10, 0x4f7ffffe, v10
	v_cvt_u32_f32_e32 v10, v10
	v_mul_lo_u32 v11, s2, v10
	v_mul_hi_u32 v11, v10, v11
	v_add_u32_e32 v10, v10, v11
	v_mul_hi_u32 v10, v14, v10
	v_mul_lo_u32 v11, v10, s40
	v_add_u32_e32 v16, 1, v10
	v_sub_u32_e32 v11, v14, v11
	v_subrev_u32_e32 v17, s40, v11
	v_cmp_le_u32_e32 vcc, s40, v11
	v_cndmask_b32_e32 v11, v11, v17, vcc
	v_cndmask_b32_e32 v10, v10, v16, vcc
	v_add_u32_e32 v16, 1, v10
	v_cmp_le_u32_e32 vcc, s40, v11
	v_cndmask_b32_e32 v10, v10, v16, vcc
	v_mov_b32_e32 v11, 0
.LBB5_25:
	s_or_b64 exec, exec, s[0:1]
	v_mul_lo_u32 v18, v7, s14
	v_mul_lo_u32 v19, v6, s15
	v_mad_u64_u32 v[16:17], s[0:1], v6, s14, 0
	v_mul_lo_u32 v7, v7, s22
	v_mul_lo_u32 v3, v3, s36
	v_add3_u32 v17, v17, v19, v18
	v_sub_co_u32_e32 v12, vcc, v12, v16
	v_subb_co_u32_e32 v13, vcc, v13, v17, vcc
	v_ashrrev_i32_e32 v16, 31, v13
	v_lshrrev_b32_e32 v16, 27, v16
	v_add_co_u32_e32 v12, vcc, v12, v16
	v_addc_co_u32_e32 v13, vcc, 0, v13, vcc
	v_ashrrev_i64 v[12:13], 5, v[12:13]
	v_mov_b32_e32 v16, s8
	v_mov_b32_e32 v17, s9
	v_mul_lo_u32 v18, v12, s21
	v_mul_lo_u32 v19, v13, s20
	v_mad_u64_u32 v[12:13], s[0:1], v12, s20, v[16:17]
	v_mul_lo_u32 v1, v1, s38
	v_mul_lo_u32 v16, v11, s40
	v_add3_u32 v13, v19, v13, v18
	v_mad_u64_u32 v[12:13], s[0:1], v6, s22, v[12:13]
	v_mul_lo_u32 v6, v6, s23
	v_mul_lo_u32 v17, v10, s41
	;; [unrolled: 1-line block ×4, first 2 shown]
	v_add3_u32 v13, v7, v13, v6
	v_mad_u64_u32 v[6:7], s[0:1], v2, s36, v[12:13]
	v_mul_lo_u32 v2, v2, s37
	v_add3_u32 v7, v3, v7, v2
	v_mad_u64_u32 v[2:3], s[0:1], v0, s38, v[6:7]
	v_mul_lo_u32 v0, v0, s39
	v_mov_b32_e32 v6, s10
	v_mov_b32_e32 v7, s11
	v_add3_u32 v3, v1, v3, v0
	global_load_ubyte v12, v[2:3], off offset:4
	global_load_dword v13, v[2:3], off
	v_mad_u64_u32 v[0:1], s[0:1], v10, s40, 0
	v_add3_u32 v1, v1, v17, v16
	v_sub_co_u32_e32 v0, vcc, v14, v0
	v_subb_co_u32_e32 v14, vcc, v15, v1, vcc
	v_mul_lo_u32 v15, v0, s47
	v_mad_u64_u32 v[0:1], s[0:1], v0, s46, v[6:7]
	v_mul_lo_u32 v6, v14, s46
	v_mul_lo_u32 v7, v10, s49
	v_add3_u32 v1, v6, v1, v15
	v_mad_u64_u32 v[0:1], s[0:1], v10, s48, v[0:1]
	s_load_dwordx2 s[0:1], s[4:5], 0x80
	v_mul_lo_u32 v6, v4, s51
	v_add3_u32 v1, v11, v1, v7
	v_mad_u64_u32 v[0:1], s[2:3], v4, s50, v[0:1]
	s_waitcnt lgkmcnt(0)
	v_mul_lo_u32 v4, v8, s1
	v_mul_lo_u32 v7, v9, s0
	v_add3_u32 v1, v5, v1, v6
	v_mad_u64_u32 v[0:1], s[0:1], v8, s0, v[0:1]
	v_add3_u32 v1, v7, v1, v4
	s_waitcnt vmcnt(1)
	v_and_b32_e32 v4, 15, v12
	v_lshrrev_b32_e32 v5, 4, v12
	v_cvt_f32_ubyte0_e32 v4, v4
	v_cvt_f32_ubyte0_e32 v5, v5
	s_waitcnt vmcnt(0)
	v_fma_mix_f32 v4, v13, v4, v13 op_sel:[0,0,1] op_sel_hi:[1,0,1]
	v_fma_mix_f32 v5, v13, v5, v13 op_sel:[0,0,1] op_sel_hi:[1,0,1]
	global_store_dword v[0:1], v4, off
	global_store_dword v[0:1], v5, off offset:64
	global_load_ubyte v4, v[2:3], off offset:5
	s_nop 0
	global_load_dword v5, v[2:3], off
	s_waitcnt vmcnt(1)
	v_and_b32_e32 v6, 15, v4
	v_lshrrev_b32_e32 v4, 4, v4
	v_cvt_f32_ubyte0_e32 v6, v6
	v_cvt_f32_ubyte0_e32 v4, v4
	s_waitcnt vmcnt(0)
	v_fma_mix_f32 v6, v5, v6, v5 op_sel:[0,0,1] op_sel_hi:[1,0,1]
	v_fma_mix_f32 v4, v5, v4, v5 op_sel:[0,0,1] op_sel_hi:[1,0,1]
	global_store_dword v[0:1], v6, off offset:4
	global_store_dword v[0:1], v4, off offset:68
	global_load_ubyte v4, v[2:3], off offset:6
	s_nop 0
	global_load_dword v5, v[2:3], off
	s_waitcnt vmcnt(1)
	v_and_b32_e32 v6, 15, v4
	v_lshrrev_b32_e32 v4, 4, v4
	v_cvt_f32_ubyte0_e32 v6, v6
	v_cvt_f32_ubyte0_e32 v4, v4
	s_waitcnt vmcnt(0)
	v_fma_mix_f32 v6, v5, v6, v5 op_sel:[0,0,1] op_sel_hi:[1,0,1]
	v_fma_mix_f32 v4, v5, v4, v5 op_sel:[0,0,1] op_sel_hi:[1,0,1]
	global_store_dword v[0:1], v6, off offset:8
	;; [unrolled: 13-line block ×15, first 2 shown]
	global_store_dword v[0:1], v3, off offset:124
.LBB5_26:
	s_endpgm
	.section	.rodata,"a",@progbits
	.p2align	6, 0x0
	.amdhsa_kernel _ZL9cpy_q_f32IXadL_ZL14cpy_blck_q_f32IXadL_ZL15dequantize_q4_1PKvliR15HIP_vector_typeIfLj2EEEELi32EEvPKcPcEELi32EEvS7_S8_lllllllllllllll
		.amdhsa_group_segment_fixed_size 0
		.amdhsa_private_segment_fixed_size 0
		.amdhsa_kernarg_size 392
		.amdhsa_user_sgpr_count 6
		.amdhsa_user_sgpr_private_segment_buffer 1
		.amdhsa_user_sgpr_dispatch_ptr 0
		.amdhsa_user_sgpr_queue_ptr 0
		.amdhsa_user_sgpr_kernarg_segment_ptr 1
		.amdhsa_user_sgpr_dispatch_id 0
		.amdhsa_user_sgpr_flat_scratch_init 0
		.amdhsa_user_sgpr_private_segment_size 0
		.amdhsa_uses_dynamic_stack 0
		.amdhsa_system_sgpr_private_segment_wavefront_offset 0
		.amdhsa_system_sgpr_workgroup_id_x 1
		.amdhsa_system_sgpr_workgroup_id_y 0
		.amdhsa_system_sgpr_workgroup_id_z 0
		.amdhsa_system_sgpr_workgroup_info 0
		.amdhsa_system_vgpr_workitem_id 0
		.amdhsa_next_free_vgpr 25
		.amdhsa_next_free_sgpr 52
		.amdhsa_reserve_vcc 1
		.amdhsa_reserve_flat_scratch 0
		.amdhsa_float_round_mode_32 0
		.amdhsa_float_round_mode_16_64 0
		.amdhsa_float_denorm_mode_32 3
		.amdhsa_float_denorm_mode_16_64 3
		.amdhsa_dx10_clamp 1
		.amdhsa_ieee_mode 1
		.amdhsa_fp16_overflow 0
		.amdhsa_exception_fp_ieee_invalid_op 0
		.amdhsa_exception_fp_denorm_src 0
		.amdhsa_exception_fp_ieee_div_zero 0
		.amdhsa_exception_fp_ieee_overflow 0
		.amdhsa_exception_fp_ieee_underflow 0
		.amdhsa_exception_fp_ieee_inexact 0
		.amdhsa_exception_int_div_zero 0
	.end_amdhsa_kernel
	.section	.text._ZL9cpy_q_f32IXadL_ZL14cpy_blck_q_f32IXadL_ZL15dequantize_q4_1PKvliR15HIP_vector_typeIfLj2EEEELi32EEvPKcPcEELi32EEvS7_S8_lllllllllllllll,"axG",@progbits,_ZL9cpy_q_f32IXadL_ZL14cpy_blck_q_f32IXadL_ZL15dequantize_q4_1PKvliR15HIP_vector_typeIfLj2EEEELi32EEvPKcPcEELi32EEvS7_S8_lllllllllllllll,comdat
.Lfunc_end5:
	.size	_ZL9cpy_q_f32IXadL_ZL14cpy_blck_q_f32IXadL_ZL15dequantize_q4_1PKvliR15HIP_vector_typeIfLj2EEEELi32EEvPKcPcEELi32EEvS7_S8_lllllllllllllll, .Lfunc_end5-_ZL9cpy_q_f32IXadL_ZL14cpy_blck_q_f32IXadL_ZL15dequantize_q4_1PKvliR15HIP_vector_typeIfLj2EEEELi32EEvPKcPcEELi32EEvS7_S8_lllllllllllllll
                                        ; -- End function
	.set _ZL9cpy_q_f32IXadL_ZL14cpy_blck_q_f32IXadL_ZL15dequantize_q4_1PKvliR15HIP_vector_typeIfLj2EEEELi32EEvPKcPcEELi32EEvS7_S8_lllllllllllllll.num_vgpr, 25
	.set _ZL9cpy_q_f32IXadL_ZL14cpy_blck_q_f32IXadL_ZL15dequantize_q4_1PKvliR15HIP_vector_typeIfLj2EEEELi32EEvPKcPcEELi32EEvS7_S8_lllllllllllllll.num_agpr, 0
	.set _ZL9cpy_q_f32IXadL_ZL14cpy_blck_q_f32IXadL_ZL15dequantize_q4_1PKvliR15HIP_vector_typeIfLj2EEEELi32EEvPKcPcEELi32EEvS7_S8_lllllllllllllll.numbered_sgpr, 52
	.set _ZL9cpy_q_f32IXadL_ZL14cpy_blck_q_f32IXadL_ZL15dequantize_q4_1PKvliR15HIP_vector_typeIfLj2EEEELi32EEvPKcPcEELi32EEvS7_S8_lllllllllllllll.num_named_barrier, 0
	.set _ZL9cpy_q_f32IXadL_ZL14cpy_blck_q_f32IXadL_ZL15dequantize_q4_1PKvliR15HIP_vector_typeIfLj2EEEELi32EEvPKcPcEELi32EEvS7_S8_lllllllllllllll.private_seg_size, 0
	.set _ZL9cpy_q_f32IXadL_ZL14cpy_blck_q_f32IXadL_ZL15dequantize_q4_1PKvliR15HIP_vector_typeIfLj2EEEELi32EEvPKcPcEELi32EEvS7_S8_lllllllllllllll.uses_vcc, 1
	.set _ZL9cpy_q_f32IXadL_ZL14cpy_blck_q_f32IXadL_ZL15dequantize_q4_1PKvliR15HIP_vector_typeIfLj2EEEELi32EEvPKcPcEELi32EEvS7_S8_lllllllllllllll.uses_flat_scratch, 0
	.set _ZL9cpy_q_f32IXadL_ZL14cpy_blck_q_f32IXadL_ZL15dequantize_q4_1PKvliR15HIP_vector_typeIfLj2EEEELi32EEvPKcPcEELi32EEvS7_S8_lllllllllllllll.has_dyn_sized_stack, 0
	.set _ZL9cpy_q_f32IXadL_ZL14cpy_blck_q_f32IXadL_ZL15dequantize_q4_1PKvliR15HIP_vector_typeIfLj2EEEELi32EEvPKcPcEELi32EEvS7_S8_lllllllllllllll.has_recursion, 0
	.set _ZL9cpy_q_f32IXadL_ZL14cpy_blck_q_f32IXadL_ZL15dequantize_q4_1PKvliR15HIP_vector_typeIfLj2EEEELi32EEvPKcPcEELi32EEvS7_S8_lllllllllllllll.has_indirect_call, 0
	.section	.AMDGPU.csdata,"",@progbits
; Kernel info:
; codeLenInByte = 6420
; TotalNumSgprs: 56
; NumVgprs: 25
; ScratchSize: 0
; MemoryBound: 0
; FloatMode: 240
; IeeeMode: 1
; LDSByteSize: 0 bytes/workgroup (compile time only)
; SGPRBlocks: 6
; VGPRBlocks: 6
; NumSGPRsForWavesPerEU: 56
; NumVGPRsForWavesPerEU: 25
; Occupancy: 9
; WaveLimiterHint : 0
; COMPUTE_PGM_RSRC2:SCRATCH_EN: 0
; COMPUTE_PGM_RSRC2:USER_SGPR: 6
; COMPUTE_PGM_RSRC2:TRAP_HANDLER: 0
; COMPUTE_PGM_RSRC2:TGID_X_EN: 1
; COMPUTE_PGM_RSRC2:TGID_Y_EN: 0
; COMPUTE_PGM_RSRC2:TGID_Z_EN: 0
; COMPUTE_PGM_RSRC2:TIDIG_COMP_CNT: 0
	.section	.text._ZL9cpy_f32_qIXadL_ZL17cpy_blck_f32_q5_0PKcPcEELi32EEvS1_S2_lllllllllllllll,"axG",@progbits,_ZL9cpy_f32_qIXadL_ZL17cpy_blck_f32_q5_0PKcPcEELi32EEvS1_S2_lllllllllllllll,comdat
	.globl	_ZL9cpy_f32_qIXadL_ZL17cpy_blck_f32_q5_0PKcPcEELi32EEvS1_S2_lllllllllllllll ; -- Begin function _ZL9cpy_f32_qIXadL_ZL17cpy_blck_f32_q5_0PKcPcEELi32EEvS1_S2_lllllllllllllll
	.p2align	8
	.type	_ZL9cpy_f32_qIXadL_ZL17cpy_blck_f32_q5_0PKcPcEELi32EEvS1_S2_lllllllllllllll,@function
_ZL9cpy_f32_qIXadL_ZL17cpy_blck_f32_q5_0PKcPcEELi32EEvS1_S2_lllllllllllllll: ; @_ZL9cpy_f32_qIXadL_ZL17cpy_blck_f32_q5_0PKcPcEELi32EEvS1_S2_lllllllllllllll
; %bb.0:
	s_load_dword s0, s[4:5], 0x94
	v_mov_b32_e32 v2, 0
	v_mov_b32_e32 v1, v2
	;; [unrolled: 1-line block ×3, first 2 shown]
	s_load_dwordx16 s[8:23], s[4:5], 0x0
	s_waitcnt lgkmcnt(0)
	s_and_b32 s0, s0, 0xffff
	v_mad_u64_u32 v[0:1], s[0:1], s0, v3, v[0:1]
	v_lshlrev_b64 v[8:9], 5, v[0:1]
	v_cmp_gt_i64_e32 vcc, s[12:13], v[8:9]
	s_and_saveexec_b64 s[0:1], vcc
	s_cbranch_execz .LBB6_28
; %bb.1:
	s_mul_i32 s0, s16, s15
	s_mul_hi_u32 s1, s16, s14
	s_add_i32 s0, s1, s0
	s_mul_i32 s1, s17, s14
	s_mul_i32 s16, s16, s14
	s_add_i32 s17, s0, s1
	s_mul_i32 s0, s16, s19
	s_mul_hi_u32 s1, s16, s18
	s_add_i32 s0, s1, s0
	s_mul_i32 s1, s17, s18
	s_add_i32 s19, s0, s1
	v_or_b32_e32 v3, s19, v9
	v_cmp_ne_u64_e32 vcc, 0, v[2:3]
	s_mul_i32 s18, s16, s18
	v_ashrrev_i32_e32 v10, 31, v9
                                        ; implicit-def: $vgpr0_vgpr1
	s_and_saveexec_b64 s[0:1], vcc
	s_xor_b64 s[2:3], exec, s[0:1]
	s_cbranch_execz .LBB6_3
; %bb.2:
	s_ashr_i32 s6, s19, 31
	s_add_u32 s0, s18, s6
	s_mov_b32 s7, s6
	s_addc_u32 s1, s19, s6
	s_xor_b64 s[12:13], s[0:1], s[6:7]
	v_cvt_f32_u32_e32 v0, s12
	v_cvt_f32_u32_e32 v1, s13
	s_sub_u32 s7, 0, s12
	s_subb_u32 s24, 0, s13
	v_madmk_f32 v0, v1, 0x4f800000, v0
	v_rcp_f32_e32 v0, v0
	v_mul_f32_e32 v0, 0x5f7ffffc, v0
	v_mul_f32_e32 v1, 0x2f800000, v0
	v_trunc_f32_e32 v1, v1
	v_madmk_f32 v0, v1, 0xcf800000, v0
	v_cvt_u32_f32_e32 v1, v1
	v_cvt_u32_f32_e32 v0, v0
	v_readfirstlane_b32 s25, v1
	v_readfirstlane_b32 s0, v0
	s_mul_i32 s1, s7, s25
	s_mul_hi_u32 s27, s7, s0
	s_mul_i32 s26, s24, s0
	s_add_i32 s1, s27, s1
	s_add_i32 s1, s1, s26
	s_mul_i32 s28, s7, s0
	s_mul_i32 s27, s0, s1
	s_mul_hi_u32 s29, s0, s28
	s_mul_hi_u32 s26, s0, s1
	s_add_u32 s27, s29, s27
	s_addc_u32 s26, 0, s26
	s_mul_hi_u32 s30, s25, s28
	s_mul_i32 s28, s25, s28
	s_add_u32 s27, s27, s28
	s_mul_hi_u32 s29, s25, s1
	s_addc_u32 s26, s26, s30
	s_addc_u32 s27, s29, 0
	s_mul_i32 s1, s25, s1
	s_add_u32 s1, s26, s1
	s_addc_u32 s26, 0, s27
	s_add_u32 s27, s0, s1
	s_cselect_b64 s[0:1], -1, 0
	s_cmp_lg_u64 s[0:1], 0
	s_addc_u32 s25, s25, s26
	s_mul_i32 s0, s7, s25
	s_mul_hi_u32 s1, s7, s27
	s_add_i32 s0, s1, s0
	s_mul_i32 s24, s24, s27
	s_add_i32 s0, s0, s24
	s_mul_i32 s7, s7, s27
	s_mul_hi_u32 s24, s25, s7
	s_mul_i32 s26, s25, s7
	s_mul_i32 s29, s27, s0
	s_mul_hi_u32 s7, s27, s7
	s_mul_hi_u32 s28, s27, s0
	s_add_u32 s7, s7, s29
	s_addc_u32 s28, 0, s28
	s_add_u32 s7, s7, s26
	s_mul_hi_u32 s1, s25, s0
	s_addc_u32 s7, s28, s24
	s_addc_u32 s1, s1, 0
	s_mul_i32 s0, s25, s0
	s_add_u32 s0, s7, s0
	s_addc_u32 s7, 0, s1
	s_add_u32 s24, s27, s0
	s_cselect_b64 s[0:1], -1, 0
	s_cmp_lg_u64 s[0:1], 0
	v_add_co_u32_e32 v0, vcc, v8, v10
	s_addc_u32 s7, s25, s7
	v_xor_b32_e32 v4, v0, v10
	v_mad_u64_u32 v[0:1], s[0:1], v4, s7, 0
	v_mul_hi_u32 v3, v4, s24
	v_addc_co_u32_e32 v2, vcc, v9, v10, vcc
	v_xor_b32_e32 v5, v2, v10
	v_add_co_u32_e32 v6, vcc, v3, v0
	v_addc_co_u32_e32 v7, vcc, 0, v1, vcc
	v_mad_u64_u32 v[0:1], s[0:1], v5, s24, 0
	v_mad_u64_u32 v[2:3], s[0:1], v5, s7, 0
	v_add_co_u32_e32 v0, vcc, v6, v0
	v_addc_co_u32_e32 v0, vcc, v7, v1, vcc
	v_addc_co_u32_e32 v1, vcc, 0, v3, vcc
	v_add_co_u32_e32 v2, vcc, v0, v2
	v_addc_co_u32_e32 v3, vcc, 0, v1, vcc
	v_mul_lo_u32 v6, s13, v2
	v_mul_lo_u32 v7, s12, v3
	v_mad_u64_u32 v[0:1], s[0:1], s12, v2, 0
	v_add3_u32 v1, v1, v7, v6
	v_sub_u32_e32 v6, v5, v1
	v_mov_b32_e32 v7, s13
	v_sub_co_u32_e32 v0, vcc, v4, v0
	v_subb_co_u32_e64 v4, s[0:1], v6, v7, vcc
	v_subrev_co_u32_e64 v6, s[0:1], s12, v0
	v_subbrev_co_u32_e64 v4, s[0:1], 0, v4, s[0:1]
	v_cmp_le_u32_e64 s[0:1], s13, v4
	v_cndmask_b32_e64 v7, 0, -1, s[0:1]
	v_cmp_le_u32_e64 s[0:1], s12, v6
	v_cndmask_b32_e64 v6, 0, -1, s[0:1]
	v_cmp_eq_u32_e64 s[0:1], s13, v4
	v_cndmask_b32_e64 v4, v7, v6, s[0:1]
	v_add_co_u32_e64 v6, s[0:1], 2, v2
	v_subb_co_u32_e32 v1, vcc, v5, v1, vcc
	v_addc_co_u32_e64 v7, s[0:1], 0, v3, s[0:1]
	v_cmp_le_u32_e32 vcc, s13, v1
	v_add_co_u32_e64 v11, s[0:1], 1, v2
	v_cndmask_b32_e64 v5, 0, -1, vcc
	v_cmp_le_u32_e32 vcc, s12, v0
	v_addc_co_u32_e64 v12, s[0:1], 0, v3, s[0:1]
	v_cndmask_b32_e64 v0, 0, -1, vcc
	v_cmp_eq_u32_e32 vcc, s13, v1
	v_cmp_ne_u32_e64 s[0:1], 0, v4
	v_cndmask_b32_e32 v0, v5, v0, vcc
	v_cndmask_b32_e64 v4, v12, v7, s[0:1]
	v_cmp_ne_u32_e32 vcc, 0, v0
	v_cndmask_b32_e64 v1, v11, v6, s[0:1]
	v_cndmask_b32_e32 v0, v3, v4, vcc
	v_cndmask_b32_e32 v1, v2, v1, vcc
	v_xor_b32_e32 v2, s6, v10
	v_xor_b32_e32 v3, v0, v2
	;; [unrolled: 1-line block ×3, first 2 shown]
	v_sub_co_u32_e32 v0, vcc, v0, v2
	v_subb_co_u32_e32 v1, vcc, v3, v2, vcc
.LBB6_3:
	s_andn2_saveexec_b64 s[0:1], s[2:3]
	s_cbranch_execz .LBB6_5
; %bb.4:
	v_cvt_f32_u32_e32 v0, s18
	s_sub_i32 s2, 0, s18
	v_rcp_iflag_f32_e32 v0, v0
	v_mul_f32_e32 v0, 0x4f7ffffe, v0
	v_cvt_u32_f32_e32 v0, v0
	v_mul_lo_u32 v1, s2, v0
	v_mul_hi_u32 v1, v0, v1
	v_add_u32_e32 v0, v0, v1
	v_mul_hi_u32 v0, v8, v0
	v_mul_lo_u32 v1, v0, s18
	v_add_u32_e32 v2, 1, v0
	v_sub_u32_e32 v1, v8, v1
	v_subrev_u32_e32 v3, s18, v1
	v_cmp_le_u32_e32 vcc, s18, v1
	v_cndmask_b32_e32 v1, v1, v3, vcc
	v_cndmask_b32_e32 v0, v0, v2, vcc
	v_add_u32_e32 v2, 1, v0
	v_cmp_le_u32_e32 vcc, s18, v1
	v_cndmask_b32_e32 v0, v0, v2, vcc
	v_mov_b32_e32 v1, 0
.LBB6_5:
	s_or_b64 exec, exec, s[0:1]
	v_mul_lo_u32 v4, s19, v0
	v_mul_lo_u32 v5, s18, v1
	v_mad_u64_u32 v[2:3], s[0:1], s18, v0, 0
                                        ; implicit-def: $vgpr6_vgpr7
	v_add3_u32 v3, v3, v5, v4
	v_sub_co_u32_e32 v2, vcc, v8, v2
	v_subb_co_u32_e32 v3, vcc, v9, v3, vcc
	v_or_b32_e32 v5, s17, v3
	v_mov_b32_e32 v4, 0
	v_cmp_ne_u64_e32 vcc, 0, v[4:5]
	s_and_saveexec_b64 s[0:1], vcc
	s_xor_b64 s[2:3], exec, s[0:1]
	s_cbranch_execz .LBB6_7
; %bb.6:
	s_ashr_i32 s6, s17, 31
	s_add_u32 s0, s16, s6
	s_mov_b32 s7, s6
	s_addc_u32 s1, s17, s6
	s_xor_b64 s[12:13], s[0:1], s[6:7]
	v_cvt_f32_u32_e32 v4, s12
	v_cvt_f32_u32_e32 v5, s13
	s_sub_u32 s7, 0, s12
	s_subb_u32 s18, 0, s13
	v_ashrrev_i32_e32 v11, 31, v3
	v_madmk_f32 v4, v5, 0x4f800000, v4
	v_rcp_f32_e32 v4, v4
	v_mul_f32_e32 v4, 0x5f7ffffc, v4
	v_mul_f32_e32 v5, 0x2f800000, v4
	v_trunc_f32_e32 v5, v5
	v_madmk_f32 v4, v5, 0xcf800000, v4
	v_cvt_u32_f32_e32 v5, v5
	v_cvt_u32_f32_e32 v4, v4
	v_readfirstlane_b32 s19, v5
	v_readfirstlane_b32 s0, v4
	s_mul_i32 s1, s7, s19
	s_mul_hi_u32 s25, s7, s0
	s_mul_i32 s24, s18, s0
	s_add_i32 s1, s25, s1
	s_add_i32 s1, s1, s24
	s_mul_i32 s26, s7, s0
	s_mul_i32 s25, s0, s1
	s_mul_hi_u32 s27, s0, s26
	s_mul_hi_u32 s24, s0, s1
	s_add_u32 s25, s27, s25
	s_addc_u32 s24, 0, s24
	s_mul_hi_u32 s28, s19, s26
	s_mul_i32 s26, s19, s26
	s_add_u32 s25, s25, s26
	s_mul_hi_u32 s27, s19, s1
	s_addc_u32 s24, s24, s28
	s_addc_u32 s25, s27, 0
	s_mul_i32 s1, s19, s1
	s_add_u32 s1, s24, s1
	s_addc_u32 s24, 0, s25
	s_add_u32 s25, s0, s1
	s_cselect_b64 s[0:1], -1, 0
	s_cmp_lg_u64 s[0:1], 0
	s_addc_u32 s19, s19, s24
	s_mul_i32 s0, s7, s19
	s_mul_hi_u32 s1, s7, s25
	s_add_i32 s0, s1, s0
	s_mul_i32 s18, s18, s25
	s_add_i32 s0, s0, s18
	s_mul_i32 s7, s7, s25
	s_mul_hi_u32 s18, s19, s7
	s_mul_i32 s24, s19, s7
	s_mul_i32 s27, s25, s0
	s_mul_hi_u32 s7, s25, s7
	s_mul_hi_u32 s26, s25, s0
	s_add_u32 s7, s7, s27
	s_addc_u32 s26, 0, s26
	s_add_u32 s7, s7, s24
	s_mul_hi_u32 s1, s19, s0
	s_addc_u32 s7, s26, s18
	s_addc_u32 s1, s1, 0
	s_mul_i32 s0, s19, s0
	s_add_u32 s0, s7, s0
	s_addc_u32 s7, 0, s1
	s_add_u32 s18, s25, s0
	s_cselect_b64 s[0:1], -1, 0
	s_cmp_lg_u64 s[0:1], 0
	v_add_co_u32_e32 v4, vcc, v2, v11
	s_addc_u32 s7, s19, s7
	v_xor_b32_e32 v12, v4, v11
	v_mad_u64_u32 v[4:5], s[0:1], v12, s7, 0
	v_mul_hi_u32 v7, v12, s18
	v_addc_co_u32_e32 v6, vcc, v3, v11, vcc
	v_xor_b32_e32 v13, v6, v11
	v_add_co_u32_e32 v14, vcc, v7, v4
	v_addc_co_u32_e32 v15, vcc, 0, v5, vcc
	v_mad_u64_u32 v[4:5], s[0:1], v13, s18, 0
	v_mad_u64_u32 v[6:7], s[0:1], v13, s7, 0
	v_add_co_u32_e32 v4, vcc, v14, v4
	v_addc_co_u32_e32 v4, vcc, v15, v5, vcc
	v_addc_co_u32_e32 v5, vcc, 0, v7, vcc
	v_add_co_u32_e32 v6, vcc, v4, v6
	v_addc_co_u32_e32 v7, vcc, 0, v5, vcc
	v_mul_lo_u32 v14, s13, v6
	v_mul_lo_u32 v15, s12, v7
	v_mad_u64_u32 v[4:5], s[0:1], s12, v6, 0
	v_add3_u32 v5, v5, v15, v14
	v_sub_u32_e32 v14, v13, v5
	v_mov_b32_e32 v15, s13
	v_sub_co_u32_e32 v4, vcc, v12, v4
	v_subb_co_u32_e64 v12, s[0:1], v14, v15, vcc
	v_subrev_co_u32_e64 v14, s[0:1], s12, v4
	v_subbrev_co_u32_e64 v12, s[0:1], 0, v12, s[0:1]
	v_cmp_le_u32_e64 s[0:1], s13, v12
	v_cndmask_b32_e64 v15, 0, -1, s[0:1]
	v_cmp_le_u32_e64 s[0:1], s12, v14
	v_cndmask_b32_e64 v14, 0, -1, s[0:1]
	v_cmp_eq_u32_e64 s[0:1], s13, v12
	v_cndmask_b32_e64 v12, v15, v14, s[0:1]
	v_add_co_u32_e64 v14, s[0:1], 2, v6
	v_subb_co_u32_e32 v5, vcc, v13, v5, vcc
	v_addc_co_u32_e64 v15, s[0:1], 0, v7, s[0:1]
	v_cmp_le_u32_e32 vcc, s13, v5
	v_add_co_u32_e64 v16, s[0:1], 1, v6
	v_cndmask_b32_e64 v13, 0, -1, vcc
	v_cmp_le_u32_e32 vcc, s12, v4
	v_addc_co_u32_e64 v17, s[0:1], 0, v7, s[0:1]
	v_cndmask_b32_e64 v4, 0, -1, vcc
	v_cmp_eq_u32_e32 vcc, s13, v5
	v_cmp_ne_u32_e64 s[0:1], 0, v12
	v_cndmask_b32_e32 v4, v13, v4, vcc
	v_cndmask_b32_e64 v12, v17, v15, s[0:1]
	v_cmp_ne_u32_e32 vcc, 0, v4
	v_cndmask_b32_e64 v5, v16, v14, s[0:1]
	v_cndmask_b32_e32 v4, v7, v12, vcc
	v_cndmask_b32_e32 v5, v6, v5, vcc
	v_xor_b32_e32 v7, s6, v11
	v_xor_b32_e32 v5, v5, v7
	;; [unrolled: 1-line block ×3, first 2 shown]
	v_sub_co_u32_e32 v6, vcc, v5, v7
	v_subb_co_u32_e32 v7, vcc, v4, v7, vcc
.LBB6_7:
	s_andn2_saveexec_b64 s[0:1], s[2:3]
	s_cbranch_execz .LBB6_9
; %bb.8:
	v_cvt_f32_u32_e32 v4, s16
	s_sub_i32 s2, 0, s16
	v_rcp_iflag_f32_e32 v4, v4
	v_mul_f32_e32 v4, 0x4f7ffffe, v4
	v_cvt_u32_f32_e32 v4, v4
	v_mul_lo_u32 v5, s2, v4
	v_mul_hi_u32 v5, v4, v5
	v_add_u32_e32 v4, v4, v5
	v_mul_hi_u32 v4, v2, v4
	v_mul_lo_u32 v5, v4, s16
	v_add_u32_e32 v6, 1, v4
	v_sub_u32_e32 v5, v2, v5
	v_subrev_u32_e32 v7, s16, v5
	v_cmp_le_u32_e32 vcc, s16, v5
	v_cndmask_b32_e32 v5, v5, v7, vcc
	v_cndmask_b32_e32 v4, v4, v6, vcc
	v_add_u32_e32 v6, 1, v4
	v_cmp_le_u32_e32 vcc, s16, v5
	v_cndmask_b32_e32 v6, v4, v6, vcc
	v_mov_b32_e32 v7, 0
.LBB6_9:
	s_or_b64 exec, exec, s[0:1]
	v_mul_lo_u32 v11, s17, v6
	v_mul_lo_u32 v12, s16, v7
	v_mad_u64_u32 v[4:5], s[0:1], s16, v6, 0
	v_add3_u32 v5, v5, v12, v11
	v_sub_co_u32_e32 v12, vcc, v2, v4
	v_subb_co_u32_e32 v14, vcc, v3, v5, vcc
	v_or_b32_e32 v3, s15, v14
	v_mov_b32_e32 v2, 0
	v_cmp_ne_u64_e32 vcc, 0, v[2:3]
                                        ; implicit-def: $vgpr2_vgpr3
	s_and_saveexec_b64 s[0:1], vcc
	s_xor_b64 s[2:3], exec, s[0:1]
	s_cbranch_execz .LBB6_11
; %bb.10:
	s_ashr_i32 s6, s15, 31
	s_add_u32 s0, s14, s6
	s_mov_b32 s7, s6
	s_addc_u32 s1, s15, s6
	s_xor_b64 s[12:13], s[0:1], s[6:7]
	v_cvt_f32_u32_e32 v2, s12
	v_cvt_f32_u32_e32 v3, s13
	s_sub_u32 s7, 0, s12
	s_subb_u32 s16, 0, s13
	v_ashrrev_i32_e32 v11, 31, v14
	v_madmk_f32 v2, v3, 0x4f800000, v2
	v_rcp_f32_e32 v2, v2
	v_mul_f32_e32 v2, 0x5f7ffffc, v2
	v_mul_f32_e32 v3, 0x2f800000, v2
	v_trunc_f32_e32 v3, v3
	v_madmk_f32 v2, v3, 0xcf800000, v2
	v_cvt_u32_f32_e32 v3, v3
	v_cvt_u32_f32_e32 v2, v2
	v_readfirstlane_b32 s17, v3
	v_readfirstlane_b32 s0, v2
	s_mul_i32 s1, s7, s17
	s_mul_hi_u32 s19, s7, s0
	s_mul_i32 s18, s16, s0
	s_add_i32 s1, s19, s1
	s_add_i32 s1, s1, s18
	s_mul_i32 s24, s7, s0
	s_mul_i32 s19, s0, s1
	s_mul_hi_u32 s25, s0, s24
	s_mul_hi_u32 s18, s0, s1
	s_add_u32 s19, s25, s19
	s_addc_u32 s18, 0, s18
	s_mul_hi_u32 s26, s17, s24
	s_mul_i32 s24, s17, s24
	s_add_u32 s19, s19, s24
	s_mul_hi_u32 s25, s17, s1
	s_addc_u32 s18, s18, s26
	s_addc_u32 s19, s25, 0
	s_mul_i32 s1, s17, s1
	s_add_u32 s1, s18, s1
	s_addc_u32 s18, 0, s19
	s_add_u32 s19, s0, s1
	s_cselect_b64 s[0:1], -1, 0
	s_cmp_lg_u64 s[0:1], 0
	s_addc_u32 s17, s17, s18
	s_mul_i32 s0, s7, s17
	s_mul_hi_u32 s1, s7, s19
	s_add_i32 s0, s1, s0
	s_mul_i32 s16, s16, s19
	s_add_i32 s0, s0, s16
	s_mul_i32 s7, s7, s19
	s_mul_hi_u32 s16, s17, s7
	s_mul_i32 s18, s17, s7
	s_mul_i32 s25, s19, s0
	s_mul_hi_u32 s7, s19, s7
	s_mul_hi_u32 s24, s19, s0
	s_add_u32 s7, s7, s25
	s_addc_u32 s24, 0, s24
	s_add_u32 s7, s7, s18
	s_mul_hi_u32 s1, s17, s0
	s_addc_u32 s7, s24, s16
	s_addc_u32 s1, s1, 0
	s_mul_i32 s0, s17, s0
	s_add_u32 s0, s7, s0
	s_addc_u32 s7, 0, s1
	s_add_u32 s16, s19, s0
	s_cselect_b64 s[0:1], -1, 0
	s_cmp_lg_u64 s[0:1], 0
	v_add_co_u32_e32 v2, vcc, v12, v11
	s_addc_u32 s7, s17, s7
	v_xor_b32_e32 v13, v2, v11
	v_mad_u64_u32 v[2:3], s[0:1], v13, s7, 0
	v_mul_hi_u32 v5, v13, s16
	v_addc_co_u32_e32 v4, vcc, v14, v11, vcc
	v_xor_b32_e32 v15, v4, v11
	v_add_co_u32_e32 v16, vcc, v5, v2
	v_addc_co_u32_e32 v17, vcc, 0, v3, vcc
	v_mad_u64_u32 v[2:3], s[0:1], v15, s16, 0
	v_mad_u64_u32 v[4:5], s[0:1], v15, s7, 0
	v_add_co_u32_e32 v2, vcc, v16, v2
	v_addc_co_u32_e32 v2, vcc, v17, v3, vcc
	v_addc_co_u32_e32 v3, vcc, 0, v5, vcc
	v_add_co_u32_e32 v4, vcc, v2, v4
	v_addc_co_u32_e32 v5, vcc, 0, v3, vcc
	v_mul_lo_u32 v16, s13, v4
	v_mul_lo_u32 v17, s12, v5
	v_mad_u64_u32 v[2:3], s[0:1], s12, v4, 0
	v_add3_u32 v3, v3, v17, v16
	v_sub_u32_e32 v16, v15, v3
	v_mov_b32_e32 v17, s13
	v_sub_co_u32_e32 v2, vcc, v13, v2
	v_subb_co_u32_e64 v13, s[0:1], v16, v17, vcc
	v_subrev_co_u32_e64 v16, s[0:1], s12, v2
	v_subbrev_co_u32_e64 v13, s[0:1], 0, v13, s[0:1]
	v_cmp_le_u32_e64 s[0:1], s13, v13
	v_cndmask_b32_e64 v17, 0, -1, s[0:1]
	v_cmp_le_u32_e64 s[0:1], s12, v16
	v_cndmask_b32_e64 v16, 0, -1, s[0:1]
	v_cmp_eq_u32_e64 s[0:1], s13, v13
	v_cndmask_b32_e64 v13, v17, v16, s[0:1]
	v_add_co_u32_e64 v16, s[0:1], 2, v4
	v_subb_co_u32_e32 v3, vcc, v15, v3, vcc
	v_addc_co_u32_e64 v17, s[0:1], 0, v5, s[0:1]
	v_cmp_le_u32_e32 vcc, s13, v3
	v_add_co_u32_e64 v18, s[0:1], 1, v4
	v_cndmask_b32_e64 v15, 0, -1, vcc
	v_cmp_le_u32_e32 vcc, s12, v2
	v_addc_co_u32_e64 v19, s[0:1], 0, v5, s[0:1]
	v_cndmask_b32_e64 v2, 0, -1, vcc
	v_cmp_eq_u32_e32 vcc, s13, v3
	v_cmp_ne_u32_e64 s[0:1], 0, v13
	v_cndmask_b32_e32 v2, v15, v2, vcc
	v_cndmask_b32_e64 v13, v19, v17, s[0:1]
	v_cmp_ne_u32_e32 vcc, 0, v2
	v_cndmask_b32_e64 v3, v18, v16, s[0:1]
	v_cndmask_b32_e32 v2, v5, v13, vcc
	v_cndmask_b32_e32 v3, v4, v3, vcc
	v_xor_b32_e32 v4, s6, v11
	v_xor_b32_e32 v5, v2, v4
	;; [unrolled: 1-line block ×3, first 2 shown]
	v_sub_co_u32_e32 v2, vcc, v2, v4
	v_subb_co_u32_e32 v3, vcc, v5, v4, vcc
.LBB6_11:
	s_andn2_saveexec_b64 s[0:1], s[2:3]
	s_cbranch_execz .LBB6_13
; %bb.12:
	v_cvt_f32_u32_e32 v2, s14
	s_sub_i32 s2, 0, s14
	v_rcp_iflag_f32_e32 v2, v2
	v_mul_f32_e32 v2, 0x4f7ffffe, v2
	v_cvt_u32_f32_e32 v2, v2
	v_mul_lo_u32 v3, s2, v2
	v_mul_hi_u32 v3, v2, v3
	v_add_u32_e32 v2, v2, v3
	v_mul_hi_u32 v2, v12, v2
	v_mul_lo_u32 v3, v2, s14
	v_add_u32_e32 v4, 1, v2
	v_sub_u32_e32 v3, v12, v3
	v_subrev_u32_e32 v5, s14, v3
	v_cmp_le_u32_e32 vcc, s14, v3
	v_cndmask_b32_e32 v3, v3, v5, vcc
	v_cndmask_b32_e32 v2, v2, v4, vcc
	v_add_u32_e32 v4, 1, v2
	v_cmp_le_u32_e32 vcc, s14, v3
	v_cndmask_b32_e32 v2, v2, v4, vcc
	v_mov_b32_e32 v3, 0
.LBB6_13:
	s_or_b64 exec, exec, s[0:1]
	s_load_dwordx16 s[36:51], s[4:5], 0x40
	v_mov_b32_e32 v4, 0
	s_waitcnt lgkmcnt(0)
	s_mul_i32 s0, s42, s41
	s_mul_hi_u32 s1, s42, s40
	s_mul_i32 s2, s43, s40
	s_mul_i32 s16, s42, s40
	s_add_i32 s17, s1, s0
	s_mul_i32 s0, s16, s45
	s_add_i32 s17, s17, s2
	s_mul_hi_u32 s1, s16, s44
	s_add_i32 s0, s1, s0
	s_mul_i32 s1, s17, s44
	s_add_i32 s18, s0, s1
	v_or_b32_e32 v5, s18, v9
	v_cmp_ne_u64_e32 vcc, 0, v[4:5]
	s_mul_i32 s19, s16, s44
                                        ; implicit-def: $vgpr4_vgpr5
	s_and_saveexec_b64 s[0:1], vcc
	s_xor_b64 s[2:3], exec, s[0:1]
	s_cbranch_execz .LBB6_15
; %bb.14:
	s_ashr_i32 s6, s18, 31
	s_add_u32 s0, s19, s6
	s_mov_b32 s7, s6
	s_addc_u32 s1, s18, s6
	s_xor_b64 s[12:13], s[0:1], s[6:7]
	v_cvt_f32_u32_e32 v4, s12
	v_cvt_f32_u32_e32 v5, s13
	s_sub_u32 s7, 0, s12
	s_subb_u32 s24, 0, s13
	v_madmk_f32 v4, v5, 0x4f800000, v4
	v_rcp_f32_e32 v4, v4
	v_mul_f32_e32 v4, 0x5f7ffffc, v4
	v_mul_f32_e32 v5, 0x2f800000, v4
	v_trunc_f32_e32 v5, v5
	v_madmk_f32 v4, v5, 0xcf800000, v4
	v_cvt_u32_f32_e32 v5, v5
	v_cvt_u32_f32_e32 v4, v4
	v_readfirstlane_b32 s25, v5
	v_readfirstlane_b32 s0, v4
	s_mul_i32 s1, s7, s25
	s_mul_hi_u32 s27, s7, s0
	s_mul_i32 s26, s24, s0
	s_add_i32 s1, s27, s1
	s_add_i32 s1, s1, s26
	s_mul_i32 s28, s7, s0
	s_mul_i32 s27, s0, s1
	s_mul_hi_u32 s29, s0, s28
	s_mul_hi_u32 s26, s0, s1
	s_add_u32 s27, s29, s27
	s_addc_u32 s26, 0, s26
	s_mul_hi_u32 s30, s25, s28
	s_mul_i32 s28, s25, s28
	s_add_u32 s27, s27, s28
	s_mul_hi_u32 s29, s25, s1
	s_addc_u32 s26, s26, s30
	s_addc_u32 s27, s29, 0
	s_mul_i32 s1, s25, s1
	s_add_u32 s1, s26, s1
	s_addc_u32 s26, 0, s27
	s_add_u32 s27, s0, s1
	s_cselect_b64 s[0:1], -1, 0
	s_cmp_lg_u64 s[0:1], 0
	s_addc_u32 s25, s25, s26
	s_mul_i32 s0, s7, s25
	s_mul_hi_u32 s1, s7, s27
	s_add_i32 s0, s1, s0
	s_mul_i32 s24, s24, s27
	s_add_i32 s0, s0, s24
	s_mul_i32 s7, s7, s27
	s_mul_hi_u32 s24, s25, s7
	s_mul_i32 s26, s25, s7
	s_mul_i32 s29, s27, s0
	s_mul_hi_u32 s7, s27, s7
	s_mul_hi_u32 s28, s27, s0
	s_add_u32 s7, s7, s29
	s_addc_u32 s28, 0, s28
	s_add_u32 s7, s7, s26
	s_mul_hi_u32 s1, s25, s0
	s_addc_u32 s7, s28, s24
	s_addc_u32 s1, s1, 0
	s_mul_i32 s0, s25, s0
	s_add_u32 s0, s7, s0
	s_addc_u32 s7, 0, s1
	s_add_u32 s24, s27, s0
	s_cselect_b64 s[0:1], -1, 0
	s_cmp_lg_u64 s[0:1], 0
	v_add_co_u32_e32 v4, vcc, v8, v10
	s_addc_u32 s7, s25, s7
	v_xor_b32_e32 v13, v4, v10
	v_mad_u64_u32 v[4:5], s[0:1], v13, s7, 0
	v_mul_hi_u32 v15, v13, s24
	v_addc_co_u32_e32 v11, vcc, v9, v10, vcc
	v_xor_b32_e32 v11, v11, v10
	v_add_co_u32_e32 v17, vcc, v15, v4
	v_addc_co_u32_e32 v18, vcc, 0, v5, vcc
	v_mad_u64_u32 v[4:5], s[0:1], v11, s24, 0
	v_mad_u64_u32 v[15:16], s[0:1], v11, s7, 0
	v_add_co_u32_e32 v4, vcc, v17, v4
	v_addc_co_u32_e32 v4, vcc, v18, v5, vcc
	v_addc_co_u32_e32 v5, vcc, 0, v16, vcc
	v_add_co_u32_e32 v15, vcc, v4, v15
	v_addc_co_u32_e32 v16, vcc, 0, v5, vcc
	v_mul_lo_u32 v17, s13, v15
	v_mul_lo_u32 v18, s12, v16
	v_mad_u64_u32 v[4:5], s[0:1], s12, v15, 0
	v_xor_b32_e32 v10, s6, v10
	v_add3_u32 v5, v5, v18, v17
	v_sub_u32_e32 v17, v11, v5
	v_mov_b32_e32 v18, s13
	v_sub_co_u32_e32 v4, vcc, v13, v4
	v_subb_co_u32_e64 v13, s[0:1], v17, v18, vcc
	v_subrev_co_u32_e64 v17, s[0:1], s12, v4
	v_subbrev_co_u32_e64 v13, s[0:1], 0, v13, s[0:1]
	v_cmp_le_u32_e64 s[0:1], s13, v13
	v_cndmask_b32_e64 v18, 0, -1, s[0:1]
	v_cmp_le_u32_e64 s[0:1], s12, v17
	v_cndmask_b32_e64 v17, 0, -1, s[0:1]
	v_cmp_eq_u32_e64 s[0:1], s13, v13
	v_cndmask_b32_e64 v13, v18, v17, s[0:1]
	v_add_co_u32_e64 v17, s[0:1], 2, v15
	v_subb_co_u32_e32 v5, vcc, v11, v5, vcc
	v_addc_co_u32_e64 v18, s[0:1], 0, v16, s[0:1]
	v_cmp_le_u32_e32 vcc, s13, v5
	v_add_co_u32_e64 v19, s[0:1], 1, v15
	v_cndmask_b32_e64 v11, 0, -1, vcc
	v_cmp_le_u32_e32 vcc, s12, v4
	v_addc_co_u32_e64 v20, s[0:1], 0, v16, s[0:1]
	v_cndmask_b32_e64 v4, 0, -1, vcc
	v_cmp_eq_u32_e32 vcc, s13, v5
	v_cmp_ne_u32_e64 s[0:1], 0, v13
	v_cndmask_b32_e32 v4, v11, v4, vcc
	v_cndmask_b32_e64 v13, v20, v18, s[0:1]
	v_cmp_ne_u32_e32 vcc, 0, v4
	v_cndmask_b32_e64 v5, v19, v17, s[0:1]
	v_cndmask_b32_e32 v4, v16, v13, vcc
	v_cndmask_b32_e32 v5, v15, v5, vcc
	v_xor_b32_e32 v11, v4, v10
	v_xor_b32_e32 v4, v5, v10
	v_sub_co_u32_e32 v4, vcc, v4, v10
	v_subb_co_u32_e32 v5, vcc, v11, v10, vcc
.LBB6_15:
	s_andn2_saveexec_b64 s[0:1], s[2:3]
	s_cbranch_execz .LBB6_17
; %bb.16:
	v_cvt_f32_u32_e32 v4, s19
	s_sub_i32 s2, 0, s19
	v_rcp_iflag_f32_e32 v4, v4
	v_mul_f32_e32 v4, 0x4f7ffffe, v4
	v_cvt_u32_f32_e32 v4, v4
	v_mul_lo_u32 v5, s2, v4
	v_mul_hi_u32 v5, v4, v5
	v_add_u32_e32 v4, v4, v5
	v_mul_hi_u32 v4, v8, v4
	v_mul_lo_u32 v5, v4, s19
	v_add_u32_e32 v10, 1, v4
	v_sub_u32_e32 v5, v8, v5
	v_subrev_u32_e32 v11, s19, v5
	v_cmp_le_u32_e32 vcc, s19, v5
	v_cndmask_b32_e32 v5, v5, v11, vcc
	v_cndmask_b32_e32 v4, v4, v10, vcc
	v_add_u32_e32 v10, 1, v4
	v_cmp_le_u32_e32 vcc, s19, v5
	v_cndmask_b32_e32 v4, v4, v10, vcc
	v_mov_b32_e32 v5, 0
.LBB6_17:
	s_or_b64 exec, exec, s[0:1]
	v_mul_lo_u32 v13, s18, v4
	v_mul_lo_u32 v15, s19, v5
	v_mad_u64_u32 v[10:11], s[0:1], s19, v4, 0
	v_add3_u32 v11, v11, v15, v13
	v_sub_co_u32_e32 v10, vcc, v8, v10
	v_subb_co_u32_e32 v11, vcc, v9, v11, vcc
	v_or_b32_e32 v9, s17, v11
	v_mov_b32_e32 v8, 0
	v_cmp_ne_u64_e32 vcc, 0, v[8:9]
                                        ; implicit-def: $vgpr8_vgpr9
	s_and_saveexec_b64 s[0:1], vcc
	s_xor_b64 s[2:3], exec, s[0:1]
	s_cbranch_execz .LBB6_19
; %bb.18:
	s_ashr_i32 s6, s17, 31
	s_add_u32 s0, s16, s6
	s_mov_b32 s7, s6
	s_addc_u32 s1, s17, s6
	s_xor_b64 s[12:13], s[0:1], s[6:7]
	v_cvt_f32_u32_e32 v8, s12
	v_cvt_f32_u32_e32 v9, s13
	s_sub_u32 s7, 0, s12
	s_subb_u32 s18, 0, s13
	v_ashrrev_i32_e32 v13, 31, v11
	v_madmk_f32 v8, v9, 0x4f800000, v8
	v_rcp_f32_e32 v8, v8
	v_mul_f32_e32 v8, 0x5f7ffffc, v8
	v_mul_f32_e32 v9, 0x2f800000, v8
	v_trunc_f32_e32 v9, v9
	v_madmk_f32 v8, v9, 0xcf800000, v8
	v_cvt_u32_f32_e32 v9, v9
	v_cvt_u32_f32_e32 v8, v8
	v_readfirstlane_b32 s19, v9
	v_readfirstlane_b32 s0, v8
	s_mul_i32 s1, s7, s19
	s_mul_hi_u32 s25, s7, s0
	s_mul_i32 s24, s18, s0
	s_add_i32 s1, s25, s1
	s_add_i32 s1, s1, s24
	s_mul_i32 s26, s7, s0
	s_mul_i32 s25, s0, s1
	s_mul_hi_u32 s27, s0, s26
	s_mul_hi_u32 s24, s0, s1
	s_add_u32 s25, s27, s25
	s_addc_u32 s24, 0, s24
	s_mul_hi_u32 s28, s19, s26
	s_mul_i32 s26, s19, s26
	s_add_u32 s25, s25, s26
	s_mul_hi_u32 s27, s19, s1
	s_addc_u32 s24, s24, s28
	s_addc_u32 s25, s27, 0
	s_mul_i32 s1, s19, s1
	s_add_u32 s1, s24, s1
	s_addc_u32 s24, 0, s25
	s_add_u32 s25, s0, s1
	s_cselect_b64 s[0:1], -1, 0
	s_cmp_lg_u64 s[0:1], 0
	s_addc_u32 s19, s19, s24
	s_mul_i32 s0, s7, s19
	s_mul_hi_u32 s1, s7, s25
	s_add_i32 s0, s1, s0
	s_mul_i32 s18, s18, s25
	s_add_i32 s0, s0, s18
	s_mul_i32 s7, s7, s25
	s_mul_hi_u32 s18, s19, s7
	s_mul_i32 s24, s19, s7
	s_mul_i32 s27, s25, s0
	s_mul_hi_u32 s7, s25, s7
	s_mul_hi_u32 s26, s25, s0
	s_add_u32 s7, s7, s27
	s_addc_u32 s26, 0, s26
	s_add_u32 s7, s7, s24
	s_mul_hi_u32 s1, s19, s0
	s_addc_u32 s7, s26, s18
	s_addc_u32 s1, s1, 0
	s_mul_i32 s0, s19, s0
	s_add_u32 s0, s7, s0
	s_addc_u32 s7, 0, s1
	s_add_u32 s18, s25, s0
	s_cselect_b64 s[0:1], -1, 0
	s_cmp_lg_u64 s[0:1], 0
	v_add_co_u32_e32 v8, vcc, v10, v13
	s_addc_u32 s7, s19, s7
	v_xor_b32_e32 v17, v8, v13
	v_mad_u64_u32 v[8:9], s[0:1], v17, s7, 0
	v_mul_hi_u32 v16, v17, s18
	v_addc_co_u32_e32 v15, vcc, v11, v13, vcc
	v_xor_b32_e32 v18, v15, v13
	v_add_co_u32_e32 v19, vcc, v16, v8
	v_addc_co_u32_e32 v20, vcc, 0, v9, vcc
	v_mad_u64_u32 v[8:9], s[0:1], v18, s18, 0
	v_mad_u64_u32 v[15:16], s[0:1], v18, s7, 0
	v_add_co_u32_e32 v8, vcc, v19, v8
	v_addc_co_u32_e32 v8, vcc, v20, v9, vcc
	v_addc_co_u32_e32 v9, vcc, 0, v16, vcc
	v_add_co_u32_e32 v15, vcc, v8, v15
	v_addc_co_u32_e32 v16, vcc, 0, v9, vcc
	v_mul_lo_u32 v19, s13, v15
	v_mul_lo_u32 v20, s12, v16
	v_mad_u64_u32 v[8:9], s[0:1], s12, v15, 0
	v_xor_b32_e32 v13, s6, v13
	v_add3_u32 v9, v9, v20, v19
	v_sub_u32_e32 v19, v18, v9
	v_mov_b32_e32 v20, s13
	v_sub_co_u32_e32 v8, vcc, v17, v8
	v_subb_co_u32_e64 v17, s[0:1], v19, v20, vcc
	v_subrev_co_u32_e64 v19, s[0:1], s12, v8
	v_subbrev_co_u32_e64 v17, s[0:1], 0, v17, s[0:1]
	v_cmp_le_u32_e64 s[0:1], s13, v17
	v_cndmask_b32_e64 v20, 0, -1, s[0:1]
	v_cmp_le_u32_e64 s[0:1], s12, v19
	v_cndmask_b32_e64 v19, 0, -1, s[0:1]
	v_cmp_eq_u32_e64 s[0:1], s13, v17
	v_cndmask_b32_e64 v17, v20, v19, s[0:1]
	v_add_co_u32_e64 v19, s[0:1], 2, v15
	v_subb_co_u32_e32 v9, vcc, v18, v9, vcc
	v_addc_co_u32_e64 v20, s[0:1], 0, v16, s[0:1]
	v_cmp_le_u32_e32 vcc, s13, v9
	v_add_co_u32_e64 v21, s[0:1], 1, v15
	v_cndmask_b32_e64 v18, 0, -1, vcc
	v_cmp_le_u32_e32 vcc, s12, v8
	v_addc_co_u32_e64 v22, s[0:1], 0, v16, s[0:1]
	v_cndmask_b32_e64 v8, 0, -1, vcc
	v_cmp_eq_u32_e32 vcc, s13, v9
	v_cmp_ne_u32_e64 s[0:1], 0, v17
	v_cndmask_b32_e32 v8, v18, v8, vcc
	v_cndmask_b32_e64 v17, v22, v20, s[0:1]
	v_cmp_ne_u32_e32 vcc, 0, v8
	v_cndmask_b32_e64 v9, v21, v19, s[0:1]
	v_cndmask_b32_e32 v8, v16, v17, vcc
	v_cndmask_b32_e32 v9, v15, v9, vcc
	v_xor_b32_e32 v15, v8, v13
	v_xor_b32_e32 v8, v9, v13
	v_sub_co_u32_e32 v8, vcc, v8, v13
	v_subb_co_u32_e32 v9, vcc, v15, v13, vcc
.LBB6_19:
	s_andn2_saveexec_b64 s[0:1], s[2:3]
	s_cbranch_execz .LBB6_21
; %bb.20:
	v_cvt_f32_u32_e32 v8, s16
	s_sub_i32 s2, 0, s16
	v_rcp_iflag_f32_e32 v8, v8
	v_mul_f32_e32 v8, 0x4f7ffffe, v8
	v_cvt_u32_f32_e32 v8, v8
	v_mul_lo_u32 v9, s2, v8
	v_mul_hi_u32 v9, v8, v9
	v_add_u32_e32 v8, v8, v9
	v_mul_hi_u32 v8, v10, v8
	v_mul_lo_u32 v9, v8, s16
	v_add_u32_e32 v13, 1, v8
	v_sub_u32_e32 v9, v10, v9
	v_subrev_u32_e32 v15, s16, v9
	v_cmp_le_u32_e32 vcc, s16, v9
	v_cndmask_b32_e32 v9, v9, v15, vcc
	v_cndmask_b32_e32 v8, v8, v13, vcc
	v_add_u32_e32 v13, 1, v8
	v_cmp_le_u32_e32 vcc, s16, v9
	v_cndmask_b32_e32 v8, v8, v13, vcc
	v_mov_b32_e32 v9, 0
.LBB6_21:
	s_or_b64 exec, exec, s[0:1]
	v_mul_lo_u32 v13, s17, v8
	v_mul_lo_u32 v17, s16, v9
	v_mad_u64_u32 v[15:16], s[0:1], s16, v8, 0
	v_add3_u32 v13, v16, v17, v13
	v_sub_co_u32_e32 v16, vcc, v10, v15
	v_subb_co_u32_e32 v15, vcc, v11, v13, vcc
	v_or_b32_e32 v11, s41, v15
	v_mov_b32_e32 v10, 0
	v_cmp_ne_u64_e32 vcc, 0, v[10:11]
                                        ; implicit-def: $vgpr10_vgpr11
	s_and_saveexec_b64 s[0:1], vcc
	s_xor_b64 s[2:3], exec, s[0:1]
	s_cbranch_execz .LBB6_23
; %bb.22:
	s_ashr_i32 s6, s41, 31
	s_add_u32 s0, s40, s6
	s_mov_b32 s7, s6
	s_addc_u32 s1, s41, s6
	s_xor_b64 s[12:13], s[0:1], s[6:7]
	v_cvt_f32_u32_e32 v10, s12
	v_cvt_f32_u32_e32 v11, s13
	s_sub_u32 s7, 0, s12
	s_subb_u32 s16, 0, s13
	v_ashrrev_i32_e32 v13, 31, v15
	v_madmk_f32 v10, v11, 0x4f800000, v10
	v_rcp_f32_e32 v10, v10
	v_mul_f32_e32 v10, 0x5f7ffffc, v10
	v_mul_f32_e32 v11, 0x2f800000, v10
	v_trunc_f32_e32 v11, v11
	v_madmk_f32 v10, v11, 0xcf800000, v10
	v_cvt_u32_f32_e32 v11, v11
	v_cvt_u32_f32_e32 v10, v10
	v_readfirstlane_b32 s17, v11
	v_readfirstlane_b32 s0, v10
	s_mul_i32 s1, s7, s17
	s_mul_hi_u32 s19, s7, s0
	s_mul_i32 s18, s16, s0
	s_add_i32 s1, s19, s1
	s_add_i32 s1, s1, s18
	s_mul_i32 s24, s7, s0
	s_mul_i32 s19, s0, s1
	s_mul_hi_u32 s25, s0, s24
	s_mul_hi_u32 s18, s0, s1
	s_add_u32 s19, s25, s19
	s_addc_u32 s18, 0, s18
	s_mul_hi_u32 s26, s17, s24
	s_mul_i32 s24, s17, s24
	s_add_u32 s19, s19, s24
	s_mul_hi_u32 s25, s17, s1
	s_addc_u32 s18, s18, s26
	s_addc_u32 s19, s25, 0
	s_mul_i32 s1, s17, s1
	s_add_u32 s1, s18, s1
	s_addc_u32 s18, 0, s19
	s_add_u32 s19, s0, s1
	s_cselect_b64 s[0:1], -1, 0
	s_cmp_lg_u64 s[0:1], 0
	s_addc_u32 s17, s17, s18
	s_mul_i32 s0, s7, s17
	s_mul_hi_u32 s1, s7, s19
	s_add_i32 s0, s1, s0
	s_mul_i32 s16, s16, s19
	s_add_i32 s0, s0, s16
	s_mul_i32 s7, s7, s19
	s_mul_hi_u32 s16, s17, s7
	s_mul_i32 s18, s17, s7
	s_mul_i32 s25, s19, s0
	s_mul_hi_u32 s7, s19, s7
	s_mul_hi_u32 s24, s19, s0
	s_add_u32 s7, s7, s25
	s_addc_u32 s24, 0, s24
	s_add_u32 s7, s7, s18
	s_mul_hi_u32 s1, s17, s0
	s_addc_u32 s7, s24, s16
	s_addc_u32 s1, s1, 0
	s_mul_i32 s0, s17, s0
	s_add_u32 s0, s7, s0
	s_addc_u32 s7, 0, s1
	s_add_u32 s16, s19, s0
	s_cselect_b64 s[0:1], -1, 0
	s_cmp_lg_u64 s[0:1], 0
	v_add_co_u32_e32 v10, vcc, v16, v13
	s_addc_u32 s7, s17, s7
	v_xor_b32_e32 v19, v10, v13
	v_mad_u64_u32 v[10:11], s[0:1], v19, s7, 0
	v_mul_hi_u32 v18, v19, s16
	v_addc_co_u32_e32 v17, vcc, v15, v13, vcc
	v_xor_b32_e32 v20, v17, v13
	v_add_co_u32_e32 v21, vcc, v18, v10
	v_addc_co_u32_e32 v22, vcc, 0, v11, vcc
	v_mad_u64_u32 v[10:11], s[0:1], v20, s16, 0
	v_mad_u64_u32 v[17:18], s[0:1], v20, s7, 0
	v_add_co_u32_e32 v10, vcc, v21, v10
	v_addc_co_u32_e32 v10, vcc, v22, v11, vcc
	v_addc_co_u32_e32 v11, vcc, 0, v18, vcc
	v_add_co_u32_e32 v17, vcc, v10, v17
	v_addc_co_u32_e32 v18, vcc, 0, v11, vcc
	v_mul_lo_u32 v21, s13, v17
	v_mul_lo_u32 v22, s12, v18
	v_mad_u64_u32 v[10:11], s[0:1], s12, v17, 0
	v_xor_b32_e32 v13, s6, v13
	v_add3_u32 v11, v11, v22, v21
	v_sub_u32_e32 v21, v20, v11
	v_mov_b32_e32 v22, s13
	v_sub_co_u32_e32 v10, vcc, v19, v10
	v_subb_co_u32_e64 v19, s[0:1], v21, v22, vcc
	v_subrev_co_u32_e64 v21, s[0:1], s12, v10
	v_subbrev_co_u32_e64 v19, s[0:1], 0, v19, s[0:1]
	v_cmp_le_u32_e64 s[0:1], s13, v19
	v_cndmask_b32_e64 v22, 0, -1, s[0:1]
	v_cmp_le_u32_e64 s[0:1], s12, v21
	v_cndmask_b32_e64 v21, 0, -1, s[0:1]
	v_cmp_eq_u32_e64 s[0:1], s13, v19
	v_cndmask_b32_e64 v19, v22, v21, s[0:1]
	v_add_co_u32_e64 v21, s[0:1], 2, v17
	v_subb_co_u32_e32 v11, vcc, v20, v11, vcc
	v_addc_co_u32_e64 v22, s[0:1], 0, v18, s[0:1]
	v_cmp_le_u32_e32 vcc, s13, v11
	v_add_co_u32_e64 v23, s[0:1], 1, v17
	v_cndmask_b32_e64 v20, 0, -1, vcc
	v_cmp_le_u32_e32 vcc, s12, v10
	v_addc_co_u32_e64 v24, s[0:1], 0, v18, s[0:1]
	v_cndmask_b32_e64 v10, 0, -1, vcc
	v_cmp_eq_u32_e32 vcc, s13, v11
	v_cmp_ne_u32_e64 s[0:1], 0, v19
	v_cndmask_b32_e32 v10, v20, v10, vcc
	v_cndmask_b32_e64 v19, v24, v22, s[0:1]
	v_cmp_ne_u32_e32 vcc, 0, v10
	v_cndmask_b32_e64 v11, v23, v21, s[0:1]
	v_cndmask_b32_e32 v10, v18, v19, vcc
	v_cndmask_b32_e32 v11, v17, v11, vcc
	v_xor_b32_e32 v17, v10, v13
	v_xor_b32_e32 v10, v11, v13
	v_sub_co_u32_e32 v10, vcc, v10, v13
	v_subb_co_u32_e32 v11, vcc, v17, v13, vcc
.LBB6_23:
	s_andn2_saveexec_b64 s[0:1], s[2:3]
	s_cbranch_execz .LBB6_25
; %bb.24:
	v_cvt_f32_u32_e32 v10, s40
	s_sub_i32 s2, 0, s40
	v_rcp_iflag_f32_e32 v10, v10
	v_mul_f32_e32 v10, 0x4f7ffffe, v10
	v_cvt_u32_f32_e32 v10, v10
	v_mul_lo_u32 v11, s2, v10
	v_mul_hi_u32 v11, v10, v11
	v_add_u32_e32 v10, v10, v11
	v_mul_hi_u32 v10, v16, v10
	v_mul_lo_u32 v11, v10, s40
	v_add_u32_e32 v13, 1, v10
	v_sub_u32_e32 v11, v16, v11
	v_subrev_u32_e32 v17, s40, v11
	v_cmp_le_u32_e32 vcc, s40, v11
	v_cndmask_b32_e32 v11, v11, v17, vcc
	v_cndmask_b32_e32 v10, v10, v13, vcc
	v_add_u32_e32 v13, 1, v10
	v_cmp_le_u32_e32 vcc, s40, v11
	v_cndmask_b32_e32 v10, v10, v13, vcc
	v_mov_b32_e32 v11, 0
.LBB6_25:
	s_or_b64 exec, exec, s[0:1]
	v_mul_lo_u32 v13, v3, s14
	v_mul_lo_u32 v19, v2, s15
	v_mad_u64_u32 v[17:18], s[0:1], v2, s14, 0
	v_mul_lo_u32 v7, v7, s36
	v_mul_lo_u32 v3, v3, s22
	v_add3_u32 v18, v18, v19, v13
	v_sub_co_u32_e32 v17, vcc, v12, v17
	v_mul_lo_u32 v19, v6, s37
	v_mad_u64_u32 v[12:13], s[0:1], v6, s36, 0
	v_subb_co_u32_e32 v14, vcc, v14, v18, vcc
	v_add3_u32 v13, v13, v19, v7
	v_mov_b32_e32 v6, s8
	v_mov_b32_e32 v7, s9
	v_mad_u64_u32 v[6:7], s[0:1], v17, s20, v[6:7]
	v_mul_lo_u32 v14, v14, s20
	v_mul_lo_u32 v18, v17, s21
	;; [unrolled: 1-line block ×5, first 2 shown]
	v_add3_u32 v7, v14, v7, v18
	v_mad_u64_u32 v[6:7], s[0:1], v2, s22, v[6:7]
	v_add3_u32 v7, v3, v7, v19
	v_add_co_u32_e32 v6, vcc, v6, v12
	v_addc_co_u32_e32 v7, vcc, v7, v13, vcc
	v_mad_u64_u32 v[6:7], s[0:1], v0, s38, v[6:7]
	v_add3_u32 v7, v1, v7, v20
	global_load_dwordx4 v[21:24], v[6:7], off
	s_waitcnt vmcnt(0)
	v_cmp_lg_f32_e32 vcc, 0, v21
	v_cndmask_b32_e64 v25, 0, |v21|, vcc
	v_cmp_lt_f32_e64 s[0:1], v25, |v22|
	v_cndmask_b32_e32 v21, 0, v21, vcc
	v_cndmask_b32_e64 v21, v21, v22, s[0:1]
	v_cndmask_b32_e64 v22, v25, |v22|, s[0:1]
	v_cmp_lt_f32_e64 vcc, v22, |v23|
	v_cndmask_b32_e64 v22, v22, |v23|, vcc
	v_cndmask_b32_e32 v21, v21, v23, vcc
	v_cmp_lt_f32_e64 vcc, v22, |v24|
	v_cndmask_b32_e32 v25, v21, v24, vcc
	v_cndmask_b32_e64 v26, v22, |v24|, vcc
	global_load_dwordx4 v[21:24], v[6:7], off offset:16
	s_waitcnt vmcnt(0)
	v_cmp_lt_f32_e64 vcc, v26, |v21|
	v_cndmask_b32_e32 v25, v25, v21, vcc
	v_cndmask_b32_e64 v21, v26, |v21|, vcc
	v_cmp_lt_f32_e64 vcc, v21, |v22|
	v_cndmask_b32_e64 v21, v21, |v22|, vcc
	v_cndmask_b32_e32 v25, v25, v22, vcc
	v_cmp_lt_f32_e64 vcc, v21, |v23|
	v_cndmask_b32_e64 v21, v21, |v23|, vcc
	v_cndmask_b32_e32 v22, v25, v23, vcc
	v_cmp_lt_f32_e64 vcc, v21, |v24|
	v_cndmask_b32_e32 v25, v22, v24, vcc
	v_cndmask_b32_e64 v26, v21, |v24|, vcc
	global_load_dwordx4 v[21:24], v[6:7], off offset:32
	s_waitcnt vmcnt(0)
	v_cmp_lt_f32_e64 vcc, v26, |v21|
	v_cndmask_b32_e32 v25, v25, v21, vcc
	v_cndmask_b32_e64 v21, v26, |v21|, vcc
	v_cmp_lt_f32_e64 vcc, v21, |v22|
	v_cndmask_b32_e64 v21, v21, |v22|, vcc
	v_cndmask_b32_e32 v25, v25, v22, vcc
	;; [unrolled: 14-line block ×6, first 2 shown]
	v_cmp_lt_f32_e64 vcc, v21, |v23|
	v_cndmask_b32_e64 v21, v21, |v23|, vcc
	v_cndmask_b32_e32 v22, v25, v23, vcc
	v_cmp_lt_f32_e64 vcc, v21, |v24|
	v_cndmask_b32_e32 v25, v22, v24, vcc
	v_cndmask_b32_e64 v26, v21, |v24|, vcc
	global_load_dwordx4 v[21:24], v[6:7], off offset:112
	s_waitcnt vmcnt(0)
	v_cmp_lt_f32_e64 vcc, v26, |v21|
	v_cndmask_b32_e64 v26, v26, |v21|, vcc
	v_cmp_lt_f32_e64 s[0:1], v26, |v22|
	v_cndmask_b32_e64 v26, v26, |v22|, s[0:1]
	v_cndmask_b32_e32 v21, v25, v21, vcc
	v_cmp_lt_f32_e64 s[2:3], v26, |v23|
	v_cndmask_b32_e64 v21, v21, v22, s[0:1]
	v_mad_u64_u32 v[12:13], s[0:1], v0, s38, v[12:13]
	v_cndmask_b32_e64 v26, v26, |v23|, s[2:3]
	v_cmp_lt_f32_e64 s[6:7], v26, |v24|
	v_cndmask_b32_e64 v21, v21, v23, s[2:3]
	v_cndmask_b32_e64 v21, v21, v24, s[6:7]
	v_add3_u32 v13, v1, v13, v20
	v_mul_f32_e32 v20, 0xbd800000, v21
	v_div_scale_f32 v1, s[2:3], v20, v20, 1.0
	v_mul_lo_u32 v22, v9, s50
	v_mul_lo_u32 v23, v8, s51
	v_mad_u64_u32 v[8:9], s[0:1], v8, s50, 0
	v_mul_lo_u32 v0, v11, s40
	v_mul_lo_u32 v24, v10, s41
	v_add3_u32 v9, v9, v23, v22
	v_mad_u64_u32 v[22:23], s[0:1], v10, s40, 0
	s_mov_b32 s6, 0xffff
	v_sub_co_u32_e64 v16, s[0:1], v16, v22
	v_add3_u32 v0, v23, v24, v0
	v_rcp_f32_e32 v22, v1
	v_fma_f32 v23, -v1, v22, 1.0
	v_fmac_f32_e32 v22, v23, v22
	v_div_scale_f32 v23, vcc, 1.0, v20, 1.0
	v_mul_f32_e32 v24, v23, v22
	v_fma_f32 v25, -v1, v24, v23
	v_fmac_f32_e32 v24, v25, v22
	v_fma_f32 v1, -v1, v24, v23
	v_div_fmas_f32 v22, v1, v22, v24
	v_subb_co_u32_e64 v1, vcc, v15, v0, s[0:1]
	v_ashrrev_i32_e32 v0, 31, v1
	v_lshrrev_b32_e32 v0, 27, v0
	v_add_co_u32_e32 v0, vcc, v16, v0
	v_addc_co_u32_e32 v1, vcc, 0, v1, vcc
	v_ashrrev_i64 v[15:16], 5, v[0:1]
	v_mov_b32_e32 v0, s10
	v_mov_b32_e32 v1, s11
	v_mad_u64_u32 v[0:1], s[0:1], v15, s46, v[0:1]
	v_mul_lo_u32 v23, v15, s47
	v_mul_lo_u32 v16, v16, s46
	;; [unrolled: 1-line block ×4, first 2 shown]
	v_add3_u32 v1, v16, v1, v23
	v_mad_u64_u32 v[0:1], s[0:1], v10, s48, v[0:1]
	s_load_dwordx2 s[0:1], s[4:5], 0x80
	s_mov_b32 s4, 0
	v_add3_u32 v1, v25, v1, v24
	v_add_co_u32_e32 v0, vcc, v0, v8
	v_addc_co_u32_e32 v1, vcc, v1, v9, vcc
	s_waitcnt lgkmcnt(0)
	v_mad_u64_u32 v[8:9], s[2:3], v4, s0, v[8:9]
	v_mul_lo_u32 v26, v4, s1
	v_mul_lo_u32 v5, v5, s0
	v_mad_u64_u32 v[0:1], s[0:1], v4, s0, v[0:1]
	v_cmp_neq_f32_e32 vcc, 0, v20
	v_add3_u32 v9, v5, v9, v26
	v_mad_u64_u32 v[8:9], s[2:3], v10, s48, v[8:9]
	v_mad_u64_u32 v[10:11], s[2:3], v2, s22, v[12:13]
	v_add3_u32 v9, v25, v9, v24
	v_mad_u64_u32 v[8:9], s[0:1], v15, s46, v[8:9]
	v_div_fixup_f32 v2, v22, v20, 1.0
	v_add3_u32 v11, v3, v11, v19
	s_mov_b32 s0, 0xbd800000
	v_cndmask_b32_e32 v4, 0, v2, vcc
	v_mad_u64_u32 v[2:3], s[2:3], v17, s20, v[10:11]
	v_add3_u32 v1, v5, v1, v26
	v_fma_mixlo_f16 v5, v21, s0, 0
	global_store_short v[0:1], v5, off
	v_add3_u32 v9, v16, v9, v23
	v_mov_b32_e32 v12, s11
	v_add_co_u32_e32 v5, vcc, s10, v8
	v_addc_co_u32_e32 v8, vcc, v12, v9, vcc
	v_add3_u32 v3, v14, v3, v18
	v_mov_b32_e32 v9, s9
	v_add_co_u32_e32 v2, vcc, s8, v2
	v_addc_co_u32_e32 v3, vcc, v9, v3, vcc
	v_add_co_u32_e32 v2, vcc, 64, v2
	s_mov_b32 s1, 0
	v_addc_co_u32_e32 v3, vcc, 0, v3, vcc
	v_mov_b32_e32 v11, 0
	s_mov_b64 s[2:3], 0
	v_mov_b32_e32 v9, 0x41840000
	s_mov_b32 s5, 0x403f0000
	v_mov_b32_e32 v10, 15
	v_mov_b32_e32 v12, 0
	;; [unrolled: 1-line block ×3, first 2 shown]
.LBB6_26:                               ; =>This Inner Loop Header: Depth=1
	s_or_b32 s0, s2, 17
	global_load_dwordx2 v[14:15], v[2:3], off offset:-64
	global_load_dword v18, v[2:3], off
	s_lshl_b64 s[8:9], s[0:1], 2
	v_mov_b32_e32 v17, s9
	v_add_co_u32_e32 v16, vcc, s8, v6
	v_addc_co_u32_e32 v17, vcc, v7, v17, vcc
	global_load_dword v16, v[16:17], off
	v_add_co_u32_e32 v2, vcc, 8, v2
	v_addc_co_u32_e32 v3, vcc, 0, v3, vcc
	v_mov_b32_e32 v17, s3
	v_and_b32_e32 v22, 0xff0000, v12
	v_add_co_u32_e32 v12, vcc, s2, v5
	v_and_or_b32 v11, v11, s6, v13
	v_addc_co_u32_e32 v13, vcc, v8, v17, vcc
	s_add_i32 s7, s2, 16
	s_add_i32 s8, s2, 1
	s_waitcnt vmcnt(2)
	v_fma_f32 v14, v4, v14, v9
	s_waitcnt vmcnt(1)
	v_fma_f32 v17, v4, v18, v9
	v_fma_f32 v15, v4, v15, v9
	v_cvt_i32_f32_e32 v14, v14
	v_cvt_i32_f32_e32 v17, v17
	;; [unrolled: 1-line block ×3, first 2 shown]
	v_cvt_f64_i32_e32 v[14:15], v14
	s_waitcnt vmcnt(0)
	v_fma_f32 v20, v4, v16, v9
	v_cvt_i32_f32_e32 v20, v20
	v_cvt_f64_i32_e32 v[16:17], v17
	v_cvt_f64_i32_e32 v[18:19], v18
	v_min_f64 v[14:15], v[14:15], s[4:5]
	v_cvt_f64_i32_e32 v[20:21], v20
	v_min_f64 v[16:17], v[16:17], s[4:5]
	v_min_f64 v[18:19], v[18:19], s[4:5]
	;; [unrolled: 1-line block ×3, first 2 shown]
	v_cvt_i32_f64_e32 v14, v[14:15]
	v_cvt_i32_f64_e32 v15, v[16:17]
	;; [unrolled: 1-line block ×3, first 2 shown]
	v_and_b32_e32 v17, 15, v14
	v_lshrrev_b16_e32 v14, 4, v14
	v_cvt_i32_f64_e32 v19, v[20:21]
	v_lshlrev_b16_e32 v18, 4, v15
	v_lshrrev_b16_e32 v15, 4, v15
	v_and_b32_sdwa v20, v16, v10 dst_sel:BYTE_1 dst_unused:UNUSED_PAD src0_sel:DWORD src1_sel:DWORD
	v_lshrrev_b16_e32 v16, 4, v16
	v_and_b32_e32 v14, 1, v14
	v_and_b32_e32 v15, 1, v15
	v_and_b32_e32 v16, 1, v16
	v_lshlrev_b32_sdwa v14, s2, v14 dst_sel:DWORD dst_unused:UNUSED_PAD src0_sel:DWORD src1_sel:WORD_0
	v_lshlrev_b32_sdwa v15, s7, v15 dst_sel:DWORD dst_unused:UNUSED_PAD src0_sel:DWORD src1_sel:WORD_0
	;; [unrolled: 1-line block ×3, first 2 shown]
	v_or3_b32 v11, v11, v22, v14
	v_lshlrev_b16_e32 v14, 12, v19
	v_or3_b32 v11, v11, v15, v16
	v_lshrrev_b16_e32 v15, 4, v19
	v_or_b32_e32 v17, v18, v17
	v_or_b32_e32 v14, v14, v20
	v_and_b32_e32 v15, 1, v15
	s_add_u32 s2, s2, 2
	v_or_b32_sdwa v14, v17, v14 dst_sel:DWORD dst_unused:UNUSED_PAD src0_sel:BYTE_0 src1_sel:DWORD
	v_and_b32_e32 v15, 0xffff, v15
	s_addc_u32 s3, s3, 0
	global_store_short v[12:13], v14, off offset:6
	v_lshl_or_b32 v12, v15, s0, v11
	s_cmp_lg_u32 s2, 16
	v_and_b32_e32 v13, 0xff000000, v12
	s_cbranch_scc1 .LBB6_26
; %bb.27:
	s_mov_b32 s0, 0xffff
	v_bfi_b32 v2, s0, v11, v12
	global_store_dword v[0:1], v2, off offset:2
.LBB6_28:
	s_endpgm
	.section	.rodata,"a",@progbits
	.p2align	6, 0x0
	.amdhsa_kernel _ZL9cpy_f32_qIXadL_ZL17cpy_blck_f32_q5_0PKcPcEELi32EEvS1_S2_lllllllllllllll
		.amdhsa_group_segment_fixed_size 0
		.amdhsa_private_segment_fixed_size 0
		.amdhsa_kernarg_size 392
		.amdhsa_user_sgpr_count 6
		.amdhsa_user_sgpr_private_segment_buffer 1
		.amdhsa_user_sgpr_dispatch_ptr 0
		.amdhsa_user_sgpr_queue_ptr 0
		.amdhsa_user_sgpr_kernarg_segment_ptr 1
		.amdhsa_user_sgpr_dispatch_id 0
		.amdhsa_user_sgpr_flat_scratch_init 0
		.amdhsa_user_sgpr_private_segment_size 0
		.amdhsa_uses_dynamic_stack 0
		.amdhsa_system_sgpr_private_segment_wavefront_offset 0
		.amdhsa_system_sgpr_workgroup_id_x 1
		.amdhsa_system_sgpr_workgroup_id_y 0
		.amdhsa_system_sgpr_workgroup_id_z 0
		.amdhsa_system_sgpr_workgroup_info 0
		.amdhsa_system_vgpr_workitem_id 0
		.amdhsa_next_free_vgpr 27
		.amdhsa_next_free_sgpr 52
		.amdhsa_reserve_vcc 1
		.amdhsa_reserve_flat_scratch 0
		.amdhsa_float_round_mode_32 0
		.amdhsa_float_round_mode_16_64 0
		.amdhsa_float_denorm_mode_32 3
		.amdhsa_float_denorm_mode_16_64 3
		.amdhsa_dx10_clamp 1
		.amdhsa_ieee_mode 1
		.amdhsa_fp16_overflow 0
		.amdhsa_exception_fp_ieee_invalid_op 0
		.amdhsa_exception_fp_denorm_src 0
		.amdhsa_exception_fp_ieee_div_zero 0
		.amdhsa_exception_fp_ieee_overflow 0
		.amdhsa_exception_fp_ieee_underflow 0
		.amdhsa_exception_fp_ieee_inexact 0
		.amdhsa_exception_int_div_zero 0
	.end_amdhsa_kernel
	.section	.text._ZL9cpy_f32_qIXadL_ZL17cpy_blck_f32_q5_0PKcPcEELi32EEvS1_S2_lllllllllllllll,"axG",@progbits,_ZL9cpy_f32_qIXadL_ZL17cpy_blck_f32_q5_0PKcPcEELi32EEvS1_S2_lllllllllllllll,comdat
.Lfunc_end6:
	.size	_ZL9cpy_f32_qIXadL_ZL17cpy_blck_f32_q5_0PKcPcEELi32EEvS1_S2_lllllllllllllll, .Lfunc_end6-_ZL9cpy_f32_qIXadL_ZL17cpy_blck_f32_q5_0PKcPcEELi32EEvS1_S2_lllllllllllllll
                                        ; -- End function
	.set _ZL9cpy_f32_qIXadL_ZL17cpy_blck_f32_q5_0PKcPcEELi32EEvS1_S2_lllllllllllllll.num_vgpr, 27
	.set _ZL9cpy_f32_qIXadL_ZL17cpy_blck_f32_q5_0PKcPcEELi32EEvS1_S2_lllllllllllllll.num_agpr, 0
	.set _ZL9cpy_f32_qIXadL_ZL17cpy_blck_f32_q5_0PKcPcEELi32EEvS1_S2_lllllllllllllll.numbered_sgpr, 52
	.set _ZL9cpy_f32_qIXadL_ZL17cpy_blck_f32_q5_0PKcPcEELi32EEvS1_S2_lllllllllllllll.num_named_barrier, 0
	.set _ZL9cpy_f32_qIXadL_ZL17cpy_blck_f32_q5_0PKcPcEELi32EEvS1_S2_lllllllllllllll.private_seg_size, 0
	.set _ZL9cpy_f32_qIXadL_ZL17cpy_blck_f32_q5_0PKcPcEELi32EEvS1_S2_lllllllllllllll.uses_vcc, 1
	.set _ZL9cpy_f32_qIXadL_ZL17cpy_blck_f32_q5_0PKcPcEELi32EEvS1_S2_lllllllllllllll.uses_flat_scratch, 0
	.set _ZL9cpy_f32_qIXadL_ZL17cpy_blck_f32_q5_0PKcPcEELi32EEvS1_S2_lllllllllllllll.has_dyn_sized_stack, 0
	.set _ZL9cpy_f32_qIXadL_ZL17cpy_blck_f32_q5_0PKcPcEELi32EEvS1_S2_lllllllllllllll.has_recursion, 0
	.set _ZL9cpy_f32_qIXadL_ZL17cpy_blck_f32_q5_0PKcPcEELi32EEvS1_S2_lllllllllllllll.has_indirect_call, 0
	.section	.AMDGPU.csdata,"",@progbits
; Kernel info:
; codeLenInByte = 6656
; TotalNumSgprs: 56
; NumVgprs: 27
; ScratchSize: 0
; MemoryBound: 0
; FloatMode: 240
; IeeeMode: 1
; LDSByteSize: 0 bytes/workgroup (compile time only)
; SGPRBlocks: 6
; VGPRBlocks: 6
; NumSGPRsForWavesPerEU: 56
; NumVGPRsForWavesPerEU: 27
; Occupancy: 9
; WaveLimiterHint : 0
; COMPUTE_PGM_RSRC2:SCRATCH_EN: 0
; COMPUTE_PGM_RSRC2:USER_SGPR: 6
; COMPUTE_PGM_RSRC2:TRAP_HANDLER: 0
; COMPUTE_PGM_RSRC2:TGID_X_EN: 1
; COMPUTE_PGM_RSRC2:TGID_Y_EN: 0
; COMPUTE_PGM_RSRC2:TGID_Z_EN: 0
; COMPUTE_PGM_RSRC2:TIDIG_COMP_CNT: 0
	.section	.text._ZL9cpy_q_f32IXadL_ZL14cpy_blck_q_f32IXadL_ZL15dequantize_q5_0PKvliR15HIP_vector_typeIfLj2EEEELi32EEvPKcPcEELi32EEvS7_S8_lllllllllllllll,"axG",@progbits,_ZL9cpy_q_f32IXadL_ZL14cpy_blck_q_f32IXadL_ZL15dequantize_q5_0PKvliR15HIP_vector_typeIfLj2EEEELi32EEvPKcPcEELi32EEvS7_S8_lllllllllllllll,comdat
	.globl	_ZL9cpy_q_f32IXadL_ZL14cpy_blck_q_f32IXadL_ZL15dequantize_q5_0PKvliR15HIP_vector_typeIfLj2EEEELi32EEvPKcPcEELi32EEvS7_S8_lllllllllllllll ; -- Begin function _ZL9cpy_q_f32IXadL_ZL14cpy_blck_q_f32IXadL_ZL15dequantize_q5_0PKvliR15HIP_vector_typeIfLj2EEEELi32EEvPKcPcEELi32EEvS7_S8_lllllllllllllll
	.p2align	8
	.type	_ZL9cpy_q_f32IXadL_ZL14cpy_blck_q_f32IXadL_ZL15dequantize_q5_0PKvliR15HIP_vector_typeIfLj2EEEELi32EEvPKcPcEELi32EEvS7_S8_lllllllllllllll,@function
_ZL9cpy_q_f32IXadL_ZL14cpy_blck_q_f32IXadL_ZL15dequantize_q5_0PKvliR15HIP_vector_typeIfLj2EEEELi32EEvPKcPcEELi32EEvS7_S8_lllllllllllllll: ; @_ZL9cpy_q_f32IXadL_ZL14cpy_blck_q_f32IXadL_ZL15dequantize_q5_0PKvliR15HIP_vector_typeIfLj2EEEELi32EEvPKcPcEELi32EEvS7_S8_lllllllllllllll
; %bb.0:
	s_load_dword s0, s[4:5], 0x94
	v_mov_b32_e32 v2, 0
	v_mov_b32_e32 v1, v2
	;; [unrolled: 1-line block ×3, first 2 shown]
	s_load_dwordx16 s[8:23], s[4:5], 0x0
	s_waitcnt lgkmcnt(0)
	s_and_b32 s0, s0, 0xffff
	v_mad_u64_u32 v[0:1], s[0:1], s0, v3, v[0:1]
	v_lshlrev_b64 v[4:5], 5, v[0:1]
	v_cmp_gt_i64_e32 vcc, s[12:13], v[4:5]
	s_and_saveexec_b64 s[0:1], vcc
	s_cbranch_execz .LBB7_26
; %bb.1:
	s_mul_i32 s0, s16, s15
	s_mul_hi_u32 s1, s16, s14
	s_add_i32 s0, s1, s0
	s_mul_i32 s1, s17, s14
	s_mul_i32 s16, s16, s14
	s_add_i32 s17, s0, s1
	s_mul_i32 s0, s16, s19
	s_mul_hi_u32 s1, s16, s18
	s_add_i32 s0, s1, s0
	s_mul_i32 s1, s17, s18
	s_add_i32 s19, s0, s1
	v_or_b32_e32 v3, s19, v5
	v_cmp_ne_u64_e32 vcc, 0, v[2:3]
	s_mul_i32 s18, s16, s18
	v_ashrrev_i32_e32 v10, 31, v5
                                        ; implicit-def: $vgpr0_vgpr1
	s_and_saveexec_b64 s[0:1], vcc
	s_xor_b64 s[2:3], exec, s[0:1]
	s_cbranch_execz .LBB7_3
; %bb.2:
	s_ashr_i32 s6, s19, 31
	s_add_u32 s0, s18, s6
	s_mov_b32 s7, s6
	s_addc_u32 s1, s19, s6
	s_xor_b64 s[12:13], s[0:1], s[6:7]
	v_cvt_f32_u32_e32 v0, s12
	v_cvt_f32_u32_e32 v1, s13
	s_sub_u32 s7, 0, s12
	s_subb_u32 s24, 0, s13
	v_madmk_f32 v0, v1, 0x4f800000, v0
	v_rcp_f32_e32 v0, v0
	v_mul_f32_e32 v0, 0x5f7ffffc, v0
	v_mul_f32_e32 v1, 0x2f800000, v0
	v_trunc_f32_e32 v1, v1
	v_madmk_f32 v0, v1, 0xcf800000, v0
	v_cvt_u32_f32_e32 v1, v1
	v_cvt_u32_f32_e32 v0, v0
	v_readfirstlane_b32 s25, v1
	v_readfirstlane_b32 s0, v0
	s_mul_i32 s1, s7, s25
	s_mul_hi_u32 s27, s7, s0
	s_mul_i32 s26, s24, s0
	s_add_i32 s1, s27, s1
	s_add_i32 s1, s1, s26
	s_mul_i32 s28, s7, s0
	s_mul_i32 s27, s0, s1
	s_mul_hi_u32 s29, s0, s28
	s_mul_hi_u32 s26, s0, s1
	s_add_u32 s27, s29, s27
	s_addc_u32 s26, 0, s26
	s_mul_hi_u32 s30, s25, s28
	s_mul_i32 s28, s25, s28
	s_add_u32 s27, s27, s28
	s_mul_hi_u32 s29, s25, s1
	s_addc_u32 s26, s26, s30
	s_addc_u32 s27, s29, 0
	s_mul_i32 s1, s25, s1
	s_add_u32 s1, s26, s1
	s_addc_u32 s26, 0, s27
	s_add_u32 s27, s0, s1
	s_cselect_b64 s[0:1], -1, 0
	s_cmp_lg_u64 s[0:1], 0
	s_addc_u32 s25, s25, s26
	s_mul_i32 s0, s7, s25
	s_mul_hi_u32 s1, s7, s27
	s_add_i32 s0, s1, s0
	s_mul_i32 s24, s24, s27
	s_add_i32 s0, s0, s24
	s_mul_i32 s7, s7, s27
	s_mul_hi_u32 s24, s25, s7
	s_mul_i32 s26, s25, s7
	s_mul_i32 s29, s27, s0
	s_mul_hi_u32 s7, s27, s7
	s_mul_hi_u32 s28, s27, s0
	s_add_u32 s7, s7, s29
	s_addc_u32 s28, 0, s28
	s_add_u32 s7, s7, s26
	s_mul_hi_u32 s1, s25, s0
	s_addc_u32 s7, s28, s24
	s_addc_u32 s1, s1, 0
	s_mul_i32 s0, s25, s0
	s_add_u32 s0, s7, s0
	s_addc_u32 s7, 0, s1
	s_add_u32 s24, s27, s0
	s_cselect_b64 s[0:1], -1, 0
	s_cmp_lg_u64 s[0:1], 0
	v_add_co_u32_e32 v0, vcc, v4, v10
	s_addc_u32 s7, s25, s7
	v_xor_b32_e32 v6, v0, v10
	v_mad_u64_u32 v[0:1], s[0:1], v6, s7, 0
	v_mul_hi_u32 v3, v6, s24
	v_addc_co_u32_e32 v2, vcc, v5, v10, vcc
	v_xor_b32_e32 v7, v2, v10
	v_add_co_u32_e32 v8, vcc, v3, v0
	v_addc_co_u32_e32 v9, vcc, 0, v1, vcc
	v_mad_u64_u32 v[0:1], s[0:1], v7, s24, 0
	v_mad_u64_u32 v[2:3], s[0:1], v7, s7, 0
	v_add_co_u32_e32 v0, vcc, v8, v0
	v_addc_co_u32_e32 v0, vcc, v9, v1, vcc
	v_addc_co_u32_e32 v1, vcc, 0, v3, vcc
	v_add_co_u32_e32 v2, vcc, v0, v2
	v_addc_co_u32_e32 v3, vcc, 0, v1, vcc
	v_mul_lo_u32 v8, s13, v2
	v_mul_lo_u32 v9, s12, v3
	v_mad_u64_u32 v[0:1], s[0:1], s12, v2, 0
	v_add3_u32 v1, v1, v9, v8
	v_sub_u32_e32 v8, v7, v1
	v_mov_b32_e32 v9, s13
	v_sub_co_u32_e32 v0, vcc, v6, v0
	v_subb_co_u32_e64 v6, s[0:1], v8, v9, vcc
	v_subrev_co_u32_e64 v8, s[0:1], s12, v0
	v_subbrev_co_u32_e64 v6, s[0:1], 0, v6, s[0:1]
	v_cmp_le_u32_e64 s[0:1], s13, v6
	v_cndmask_b32_e64 v9, 0, -1, s[0:1]
	v_cmp_le_u32_e64 s[0:1], s12, v8
	v_cndmask_b32_e64 v8, 0, -1, s[0:1]
	v_cmp_eq_u32_e64 s[0:1], s13, v6
	v_cndmask_b32_e64 v6, v9, v8, s[0:1]
	v_add_co_u32_e64 v8, s[0:1], 2, v2
	v_subb_co_u32_e32 v1, vcc, v7, v1, vcc
	v_addc_co_u32_e64 v9, s[0:1], 0, v3, s[0:1]
	v_cmp_le_u32_e32 vcc, s13, v1
	v_add_co_u32_e64 v11, s[0:1], 1, v2
	v_cndmask_b32_e64 v7, 0, -1, vcc
	v_cmp_le_u32_e32 vcc, s12, v0
	v_addc_co_u32_e64 v12, s[0:1], 0, v3, s[0:1]
	v_cndmask_b32_e64 v0, 0, -1, vcc
	v_cmp_eq_u32_e32 vcc, s13, v1
	v_cmp_ne_u32_e64 s[0:1], 0, v6
	v_cndmask_b32_e32 v0, v7, v0, vcc
	v_cndmask_b32_e64 v6, v12, v9, s[0:1]
	v_cmp_ne_u32_e32 vcc, 0, v0
	v_cndmask_b32_e64 v1, v11, v8, s[0:1]
	v_cndmask_b32_e32 v0, v3, v6, vcc
	v_cndmask_b32_e32 v1, v2, v1, vcc
	v_xor_b32_e32 v2, s6, v10
	v_xor_b32_e32 v3, v0, v2
	;; [unrolled: 1-line block ×3, first 2 shown]
	v_sub_co_u32_e32 v0, vcc, v0, v2
	v_subb_co_u32_e32 v1, vcc, v3, v2, vcc
.LBB7_3:
	s_andn2_saveexec_b64 s[0:1], s[2:3]
	s_cbranch_execz .LBB7_5
; %bb.4:
	v_cvt_f32_u32_e32 v0, s18
	s_sub_i32 s2, 0, s18
	v_rcp_iflag_f32_e32 v0, v0
	v_mul_f32_e32 v0, 0x4f7ffffe, v0
	v_cvt_u32_f32_e32 v0, v0
	v_mul_lo_u32 v1, s2, v0
	v_mul_hi_u32 v1, v0, v1
	v_add_u32_e32 v0, v0, v1
	v_mul_hi_u32 v0, v4, v0
	v_mul_lo_u32 v1, v0, s18
	v_add_u32_e32 v2, 1, v0
	v_sub_u32_e32 v1, v4, v1
	v_subrev_u32_e32 v3, s18, v1
	v_cmp_le_u32_e32 vcc, s18, v1
	v_cndmask_b32_e32 v1, v1, v3, vcc
	v_cndmask_b32_e32 v0, v0, v2, vcc
	v_add_u32_e32 v2, 1, v0
	v_cmp_le_u32_e32 vcc, s18, v1
	v_cndmask_b32_e32 v0, v0, v2, vcc
	v_mov_b32_e32 v1, 0
.LBB7_5:
	s_or_b64 exec, exec, s[0:1]
	v_mul_lo_u32 v6, s19, v0
	v_mul_lo_u32 v7, s18, v1
	v_mad_u64_u32 v[2:3], s[0:1], s18, v0, 0
	v_add3_u32 v3, v3, v7, v6
	v_sub_co_u32_e32 v6, vcc, v4, v2
	v_subb_co_u32_e32 v7, vcc, v5, v3, vcc
	v_or_b32_e32 v3, s17, v7
	v_mov_b32_e32 v2, 0
	v_cmp_ne_u64_e32 vcc, 0, v[2:3]
                                        ; implicit-def: $vgpr2_vgpr3
	s_and_saveexec_b64 s[0:1], vcc
	s_xor_b64 s[2:3], exec, s[0:1]
	s_cbranch_execz .LBB7_7
; %bb.6:
	s_ashr_i32 s6, s17, 31
	s_add_u32 s0, s16, s6
	s_mov_b32 s7, s6
	s_addc_u32 s1, s17, s6
	s_xor_b64 s[12:13], s[0:1], s[6:7]
	v_cvt_f32_u32_e32 v2, s12
	v_cvt_f32_u32_e32 v3, s13
	s_sub_u32 s7, 0, s12
	s_subb_u32 s18, 0, s13
	v_ashrrev_i32_e32 v11, 31, v7
	v_madmk_f32 v2, v3, 0x4f800000, v2
	v_rcp_f32_e32 v2, v2
	v_mul_f32_e32 v2, 0x5f7ffffc, v2
	v_mul_f32_e32 v3, 0x2f800000, v2
	v_trunc_f32_e32 v3, v3
	v_madmk_f32 v2, v3, 0xcf800000, v2
	v_cvt_u32_f32_e32 v3, v3
	v_cvt_u32_f32_e32 v2, v2
	v_readfirstlane_b32 s19, v3
	v_readfirstlane_b32 s0, v2
	s_mul_i32 s1, s7, s19
	s_mul_hi_u32 s25, s7, s0
	s_mul_i32 s24, s18, s0
	s_add_i32 s1, s25, s1
	s_add_i32 s1, s1, s24
	s_mul_i32 s26, s7, s0
	s_mul_i32 s25, s0, s1
	s_mul_hi_u32 s27, s0, s26
	s_mul_hi_u32 s24, s0, s1
	s_add_u32 s25, s27, s25
	s_addc_u32 s24, 0, s24
	s_mul_hi_u32 s28, s19, s26
	s_mul_i32 s26, s19, s26
	s_add_u32 s25, s25, s26
	s_mul_hi_u32 s27, s19, s1
	s_addc_u32 s24, s24, s28
	s_addc_u32 s25, s27, 0
	s_mul_i32 s1, s19, s1
	s_add_u32 s1, s24, s1
	s_addc_u32 s24, 0, s25
	s_add_u32 s25, s0, s1
	s_cselect_b64 s[0:1], -1, 0
	s_cmp_lg_u64 s[0:1], 0
	s_addc_u32 s19, s19, s24
	s_mul_i32 s0, s7, s19
	s_mul_hi_u32 s1, s7, s25
	s_add_i32 s0, s1, s0
	s_mul_i32 s18, s18, s25
	s_add_i32 s0, s0, s18
	s_mul_i32 s7, s7, s25
	s_mul_hi_u32 s18, s19, s7
	s_mul_i32 s24, s19, s7
	s_mul_i32 s27, s25, s0
	s_mul_hi_u32 s7, s25, s7
	s_mul_hi_u32 s26, s25, s0
	s_add_u32 s7, s7, s27
	s_addc_u32 s26, 0, s26
	s_add_u32 s7, s7, s24
	s_mul_hi_u32 s1, s19, s0
	s_addc_u32 s7, s26, s18
	s_addc_u32 s1, s1, 0
	s_mul_i32 s0, s19, s0
	s_add_u32 s0, s7, s0
	s_addc_u32 s7, 0, s1
	s_add_u32 s18, s25, s0
	s_cselect_b64 s[0:1], -1, 0
	s_cmp_lg_u64 s[0:1], 0
	v_add_co_u32_e32 v2, vcc, v6, v11
	s_addc_u32 s7, s19, s7
	v_xor_b32_e32 v12, v2, v11
	v_mad_u64_u32 v[2:3], s[0:1], v12, s7, 0
	v_mul_hi_u32 v9, v12, s18
	v_addc_co_u32_e32 v8, vcc, v7, v11, vcc
	v_xor_b32_e32 v13, v8, v11
	v_add_co_u32_e32 v14, vcc, v9, v2
	v_addc_co_u32_e32 v15, vcc, 0, v3, vcc
	v_mad_u64_u32 v[2:3], s[0:1], v13, s18, 0
	v_mad_u64_u32 v[8:9], s[0:1], v13, s7, 0
	v_add_co_u32_e32 v2, vcc, v14, v2
	v_addc_co_u32_e32 v2, vcc, v15, v3, vcc
	v_addc_co_u32_e32 v3, vcc, 0, v9, vcc
	v_add_co_u32_e32 v8, vcc, v2, v8
	v_addc_co_u32_e32 v9, vcc, 0, v3, vcc
	v_mul_lo_u32 v14, s13, v8
	v_mul_lo_u32 v15, s12, v9
	v_mad_u64_u32 v[2:3], s[0:1], s12, v8, 0
	v_add3_u32 v3, v3, v15, v14
	v_sub_u32_e32 v14, v13, v3
	v_mov_b32_e32 v15, s13
	v_sub_co_u32_e32 v2, vcc, v12, v2
	v_subb_co_u32_e64 v12, s[0:1], v14, v15, vcc
	v_subrev_co_u32_e64 v14, s[0:1], s12, v2
	v_subbrev_co_u32_e64 v12, s[0:1], 0, v12, s[0:1]
	v_cmp_le_u32_e64 s[0:1], s13, v12
	v_cndmask_b32_e64 v15, 0, -1, s[0:1]
	v_cmp_le_u32_e64 s[0:1], s12, v14
	v_cndmask_b32_e64 v14, 0, -1, s[0:1]
	v_cmp_eq_u32_e64 s[0:1], s13, v12
	v_cndmask_b32_e64 v12, v15, v14, s[0:1]
	v_add_co_u32_e64 v14, s[0:1], 2, v8
	v_subb_co_u32_e32 v3, vcc, v13, v3, vcc
	v_addc_co_u32_e64 v15, s[0:1], 0, v9, s[0:1]
	v_cmp_le_u32_e32 vcc, s13, v3
	v_add_co_u32_e64 v16, s[0:1], 1, v8
	v_cndmask_b32_e64 v13, 0, -1, vcc
	v_cmp_le_u32_e32 vcc, s12, v2
	v_addc_co_u32_e64 v17, s[0:1], 0, v9, s[0:1]
	v_cndmask_b32_e64 v2, 0, -1, vcc
	v_cmp_eq_u32_e32 vcc, s13, v3
	v_cmp_ne_u32_e64 s[0:1], 0, v12
	v_cndmask_b32_e32 v2, v13, v2, vcc
	v_cndmask_b32_e64 v12, v17, v15, s[0:1]
	v_cmp_ne_u32_e32 vcc, 0, v2
	v_cndmask_b32_e64 v3, v16, v14, s[0:1]
	v_cndmask_b32_e32 v2, v9, v12, vcc
	v_cndmask_b32_e32 v3, v8, v3, vcc
	v_xor_b32_e32 v8, s6, v11
	v_xor_b32_e32 v9, v2, v8
	;; [unrolled: 1-line block ×3, first 2 shown]
	v_sub_co_u32_e32 v2, vcc, v2, v8
	v_subb_co_u32_e32 v3, vcc, v9, v8, vcc
.LBB7_7:
	s_andn2_saveexec_b64 s[0:1], s[2:3]
	s_cbranch_execz .LBB7_9
; %bb.8:
	v_cvt_f32_u32_e32 v2, s16
	s_sub_i32 s2, 0, s16
	v_rcp_iflag_f32_e32 v2, v2
	v_mul_f32_e32 v2, 0x4f7ffffe, v2
	v_cvt_u32_f32_e32 v2, v2
	v_mul_lo_u32 v3, s2, v2
	v_mul_hi_u32 v3, v2, v3
	v_add_u32_e32 v2, v2, v3
	v_mul_hi_u32 v2, v6, v2
	v_mul_lo_u32 v3, v2, s16
	v_add_u32_e32 v8, 1, v2
	v_sub_u32_e32 v3, v6, v3
	v_subrev_u32_e32 v9, s16, v3
	v_cmp_le_u32_e32 vcc, s16, v3
	v_cndmask_b32_e32 v3, v3, v9, vcc
	v_cndmask_b32_e32 v2, v2, v8, vcc
	v_add_u32_e32 v8, 1, v2
	v_cmp_le_u32_e32 vcc, s16, v3
	v_cndmask_b32_e32 v2, v2, v8, vcc
	v_mov_b32_e32 v3, 0
.LBB7_9:
	s_or_b64 exec, exec, s[0:1]
	v_mul_lo_u32 v11, s17, v2
	v_mul_lo_u32 v12, s16, v3
	v_mad_u64_u32 v[8:9], s[0:1], s16, v2, 0
	v_add3_u32 v9, v9, v12, v11
	v_sub_co_u32_e32 v12, vcc, v6, v8
	v_subb_co_u32_e32 v13, vcc, v7, v9, vcc
	v_or_b32_e32 v7, s15, v13
	v_mov_b32_e32 v6, 0
	v_cmp_ne_u64_e32 vcc, 0, v[6:7]
                                        ; implicit-def: $vgpr6_vgpr7
	s_and_saveexec_b64 s[0:1], vcc
	s_xor_b64 s[2:3], exec, s[0:1]
	s_cbranch_execz .LBB7_11
; %bb.10:
	s_ashr_i32 s6, s15, 31
	s_add_u32 s0, s14, s6
	s_mov_b32 s7, s6
	s_addc_u32 s1, s15, s6
	s_xor_b64 s[12:13], s[0:1], s[6:7]
	v_cvt_f32_u32_e32 v6, s12
	v_cvt_f32_u32_e32 v7, s13
	s_sub_u32 s7, 0, s12
	s_subb_u32 s16, 0, s13
	v_ashrrev_i32_e32 v11, 31, v13
	v_madmk_f32 v6, v7, 0x4f800000, v6
	v_rcp_f32_e32 v6, v6
	v_mul_f32_e32 v6, 0x5f7ffffc, v6
	v_mul_f32_e32 v7, 0x2f800000, v6
	v_trunc_f32_e32 v7, v7
	v_madmk_f32 v6, v7, 0xcf800000, v6
	v_cvt_u32_f32_e32 v7, v7
	v_cvt_u32_f32_e32 v6, v6
	v_readfirstlane_b32 s17, v7
	v_readfirstlane_b32 s0, v6
	s_mul_i32 s1, s7, s17
	s_mul_hi_u32 s19, s7, s0
	s_mul_i32 s18, s16, s0
	s_add_i32 s1, s19, s1
	s_add_i32 s1, s1, s18
	s_mul_i32 s24, s7, s0
	s_mul_i32 s19, s0, s1
	s_mul_hi_u32 s25, s0, s24
	s_mul_hi_u32 s18, s0, s1
	s_add_u32 s19, s25, s19
	s_addc_u32 s18, 0, s18
	s_mul_hi_u32 s26, s17, s24
	s_mul_i32 s24, s17, s24
	s_add_u32 s19, s19, s24
	s_mul_hi_u32 s25, s17, s1
	s_addc_u32 s18, s18, s26
	s_addc_u32 s19, s25, 0
	s_mul_i32 s1, s17, s1
	s_add_u32 s1, s18, s1
	s_addc_u32 s18, 0, s19
	s_add_u32 s19, s0, s1
	s_cselect_b64 s[0:1], -1, 0
	s_cmp_lg_u64 s[0:1], 0
	s_addc_u32 s17, s17, s18
	s_mul_i32 s0, s7, s17
	s_mul_hi_u32 s1, s7, s19
	s_add_i32 s0, s1, s0
	s_mul_i32 s16, s16, s19
	s_add_i32 s0, s0, s16
	s_mul_i32 s7, s7, s19
	s_mul_hi_u32 s16, s17, s7
	s_mul_i32 s18, s17, s7
	s_mul_i32 s25, s19, s0
	s_mul_hi_u32 s7, s19, s7
	s_mul_hi_u32 s24, s19, s0
	s_add_u32 s7, s7, s25
	s_addc_u32 s24, 0, s24
	s_add_u32 s7, s7, s18
	s_mul_hi_u32 s1, s17, s0
	s_addc_u32 s7, s24, s16
	s_addc_u32 s1, s1, 0
	s_mul_i32 s0, s17, s0
	s_add_u32 s0, s7, s0
	s_addc_u32 s7, 0, s1
	s_add_u32 s16, s19, s0
	s_cselect_b64 s[0:1], -1, 0
	s_cmp_lg_u64 s[0:1], 0
	v_add_co_u32_e32 v6, vcc, v12, v11
	s_addc_u32 s7, s17, s7
	v_xor_b32_e32 v14, v6, v11
	v_mad_u64_u32 v[6:7], s[0:1], v14, s7, 0
	v_mul_hi_u32 v9, v14, s16
	v_addc_co_u32_e32 v8, vcc, v13, v11, vcc
	v_xor_b32_e32 v15, v8, v11
	v_add_co_u32_e32 v16, vcc, v9, v6
	v_addc_co_u32_e32 v17, vcc, 0, v7, vcc
	v_mad_u64_u32 v[6:7], s[0:1], v15, s16, 0
	v_mad_u64_u32 v[8:9], s[0:1], v15, s7, 0
	v_add_co_u32_e32 v6, vcc, v16, v6
	v_addc_co_u32_e32 v6, vcc, v17, v7, vcc
	v_addc_co_u32_e32 v7, vcc, 0, v9, vcc
	v_add_co_u32_e32 v8, vcc, v6, v8
	v_addc_co_u32_e32 v9, vcc, 0, v7, vcc
	v_mul_lo_u32 v16, s13, v8
	v_mul_lo_u32 v17, s12, v9
	v_mad_u64_u32 v[6:7], s[0:1], s12, v8, 0
	v_add3_u32 v7, v7, v17, v16
	v_sub_u32_e32 v16, v15, v7
	v_mov_b32_e32 v17, s13
	v_sub_co_u32_e32 v6, vcc, v14, v6
	v_subb_co_u32_e64 v14, s[0:1], v16, v17, vcc
	v_subrev_co_u32_e64 v16, s[0:1], s12, v6
	v_subbrev_co_u32_e64 v14, s[0:1], 0, v14, s[0:1]
	v_cmp_le_u32_e64 s[0:1], s13, v14
	v_cndmask_b32_e64 v17, 0, -1, s[0:1]
	v_cmp_le_u32_e64 s[0:1], s12, v16
	v_cndmask_b32_e64 v16, 0, -1, s[0:1]
	v_cmp_eq_u32_e64 s[0:1], s13, v14
	v_cndmask_b32_e64 v14, v17, v16, s[0:1]
	v_add_co_u32_e64 v16, s[0:1], 2, v8
	v_subb_co_u32_e32 v7, vcc, v15, v7, vcc
	v_addc_co_u32_e64 v17, s[0:1], 0, v9, s[0:1]
	v_cmp_le_u32_e32 vcc, s13, v7
	v_add_co_u32_e64 v18, s[0:1], 1, v8
	v_cndmask_b32_e64 v15, 0, -1, vcc
	v_cmp_le_u32_e32 vcc, s12, v6
	v_addc_co_u32_e64 v19, s[0:1], 0, v9, s[0:1]
	v_cndmask_b32_e64 v6, 0, -1, vcc
	v_cmp_eq_u32_e32 vcc, s13, v7
	v_cmp_ne_u32_e64 s[0:1], 0, v14
	v_cndmask_b32_e32 v6, v15, v6, vcc
	v_cndmask_b32_e64 v14, v19, v17, s[0:1]
	v_cmp_ne_u32_e32 vcc, 0, v6
	v_cndmask_b32_e64 v7, v18, v16, s[0:1]
	v_cndmask_b32_e32 v6, v9, v14, vcc
	v_cndmask_b32_e32 v7, v8, v7, vcc
	v_xor_b32_e32 v8, s6, v11
	v_xor_b32_e32 v9, v6, v8
	;; [unrolled: 1-line block ×3, first 2 shown]
	v_sub_co_u32_e32 v6, vcc, v6, v8
	v_subb_co_u32_e32 v7, vcc, v9, v8, vcc
.LBB7_11:
	s_andn2_saveexec_b64 s[0:1], s[2:3]
	s_cbranch_execz .LBB7_13
; %bb.12:
	v_cvt_f32_u32_e32 v6, s14
	s_sub_i32 s2, 0, s14
	v_rcp_iflag_f32_e32 v6, v6
	v_mul_f32_e32 v6, 0x4f7ffffe, v6
	v_cvt_u32_f32_e32 v6, v6
	v_mul_lo_u32 v7, s2, v6
	v_mul_hi_u32 v7, v6, v7
	v_add_u32_e32 v6, v6, v7
	v_mul_hi_u32 v6, v12, v6
	v_mul_lo_u32 v7, v6, s14
	v_add_u32_e32 v8, 1, v6
	v_sub_u32_e32 v7, v12, v7
	v_subrev_u32_e32 v9, s14, v7
	v_cmp_le_u32_e32 vcc, s14, v7
	v_cndmask_b32_e32 v7, v7, v9, vcc
	v_cndmask_b32_e32 v6, v6, v8, vcc
	v_add_u32_e32 v8, 1, v6
	v_cmp_le_u32_e32 vcc, s14, v7
	v_cndmask_b32_e32 v6, v6, v8, vcc
	v_mov_b32_e32 v7, 0
.LBB7_13:
	s_or_b64 exec, exec, s[0:1]
	s_load_dwordx16 s[36:51], s[4:5], 0x40
	v_mov_b32_e32 v8, 0
	s_waitcnt lgkmcnt(0)
	s_mul_i32 s0, s42, s41
	s_mul_hi_u32 s1, s42, s40
	s_mul_i32 s2, s43, s40
	s_mul_i32 s16, s42, s40
	s_add_i32 s17, s1, s0
	s_mul_i32 s0, s16, s45
	s_add_i32 s17, s17, s2
	s_mul_hi_u32 s1, s16, s44
	s_add_i32 s0, s1, s0
	s_mul_i32 s1, s17, s44
	s_add_i32 s18, s0, s1
	v_or_b32_e32 v9, s18, v5
	v_cmp_ne_u64_e32 vcc, 0, v[8:9]
	s_mul_i32 s19, s16, s44
                                        ; implicit-def: $vgpr8_vgpr9
	s_and_saveexec_b64 s[0:1], vcc
	s_xor_b64 s[2:3], exec, s[0:1]
	s_cbranch_execz .LBB7_15
; %bb.14:
	s_ashr_i32 s6, s18, 31
	s_add_u32 s0, s19, s6
	s_mov_b32 s7, s6
	s_addc_u32 s1, s18, s6
	s_xor_b64 s[12:13], s[0:1], s[6:7]
	v_cvt_f32_u32_e32 v8, s12
	v_cvt_f32_u32_e32 v9, s13
	s_sub_u32 s7, 0, s12
	s_subb_u32 s24, 0, s13
	v_madmk_f32 v8, v9, 0x4f800000, v8
	v_rcp_f32_e32 v8, v8
	v_mul_f32_e32 v8, 0x5f7ffffc, v8
	v_mul_f32_e32 v9, 0x2f800000, v8
	v_trunc_f32_e32 v9, v9
	v_madmk_f32 v8, v9, 0xcf800000, v8
	v_cvt_u32_f32_e32 v9, v9
	v_cvt_u32_f32_e32 v8, v8
	v_readfirstlane_b32 s25, v9
	v_readfirstlane_b32 s0, v8
	s_mul_i32 s1, s7, s25
	s_mul_hi_u32 s27, s7, s0
	s_mul_i32 s26, s24, s0
	s_add_i32 s1, s27, s1
	s_add_i32 s1, s1, s26
	s_mul_i32 s28, s7, s0
	s_mul_i32 s27, s0, s1
	s_mul_hi_u32 s29, s0, s28
	s_mul_hi_u32 s26, s0, s1
	s_add_u32 s27, s29, s27
	s_addc_u32 s26, 0, s26
	s_mul_hi_u32 s30, s25, s28
	s_mul_i32 s28, s25, s28
	s_add_u32 s27, s27, s28
	s_mul_hi_u32 s29, s25, s1
	s_addc_u32 s26, s26, s30
	s_addc_u32 s27, s29, 0
	s_mul_i32 s1, s25, s1
	s_add_u32 s1, s26, s1
	s_addc_u32 s26, 0, s27
	s_add_u32 s27, s0, s1
	s_cselect_b64 s[0:1], -1, 0
	s_cmp_lg_u64 s[0:1], 0
	s_addc_u32 s25, s25, s26
	s_mul_i32 s0, s7, s25
	s_mul_hi_u32 s1, s7, s27
	s_add_i32 s0, s1, s0
	s_mul_i32 s24, s24, s27
	s_add_i32 s0, s0, s24
	s_mul_i32 s7, s7, s27
	s_mul_hi_u32 s24, s25, s7
	s_mul_i32 s26, s25, s7
	s_mul_i32 s29, s27, s0
	s_mul_hi_u32 s7, s27, s7
	s_mul_hi_u32 s28, s27, s0
	s_add_u32 s7, s7, s29
	s_addc_u32 s28, 0, s28
	s_add_u32 s7, s7, s26
	s_mul_hi_u32 s1, s25, s0
	s_addc_u32 s7, s28, s24
	s_addc_u32 s1, s1, 0
	s_mul_i32 s0, s25, s0
	s_add_u32 s0, s7, s0
	s_addc_u32 s7, 0, s1
	s_add_u32 s24, s27, s0
	s_cselect_b64 s[0:1], -1, 0
	s_cmp_lg_u64 s[0:1], 0
	v_add_co_u32_e32 v8, vcc, v4, v10
	s_addc_u32 s7, s25, s7
	v_xor_b32_e32 v16, v8, v10
	v_mad_u64_u32 v[8:9], s[0:1], v16, s7, 0
	v_mul_hi_u32 v14, v16, s24
	v_addc_co_u32_e32 v11, vcc, v5, v10, vcc
	v_xor_b32_e32 v11, v11, v10
	v_add_co_u32_e32 v17, vcc, v14, v8
	v_addc_co_u32_e32 v18, vcc, 0, v9, vcc
	v_mad_u64_u32 v[8:9], s[0:1], v11, s24, 0
	v_mad_u64_u32 v[14:15], s[0:1], v11, s7, 0
	v_add_co_u32_e32 v8, vcc, v17, v8
	v_addc_co_u32_e32 v8, vcc, v18, v9, vcc
	v_addc_co_u32_e32 v9, vcc, 0, v15, vcc
	v_add_co_u32_e32 v14, vcc, v8, v14
	v_addc_co_u32_e32 v15, vcc, 0, v9, vcc
	v_mul_lo_u32 v17, s13, v14
	v_mul_lo_u32 v18, s12, v15
	v_mad_u64_u32 v[8:9], s[0:1], s12, v14, 0
	v_xor_b32_e32 v10, s6, v10
	v_add3_u32 v9, v9, v18, v17
	v_sub_u32_e32 v17, v11, v9
	v_mov_b32_e32 v18, s13
	v_sub_co_u32_e32 v8, vcc, v16, v8
	v_subb_co_u32_e64 v16, s[0:1], v17, v18, vcc
	v_subrev_co_u32_e64 v17, s[0:1], s12, v8
	v_subbrev_co_u32_e64 v16, s[0:1], 0, v16, s[0:1]
	v_cmp_le_u32_e64 s[0:1], s13, v16
	v_cndmask_b32_e64 v18, 0, -1, s[0:1]
	v_cmp_le_u32_e64 s[0:1], s12, v17
	v_cndmask_b32_e64 v17, 0, -1, s[0:1]
	v_cmp_eq_u32_e64 s[0:1], s13, v16
	v_cndmask_b32_e64 v16, v18, v17, s[0:1]
	v_add_co_u32_e64 v17, s[0:1], 2, v14
	v_subb_co_u32_e32 v9, vcc, v11, v9, vcc
	v_addc_co_u32_e64 v18, s[0:1], 0, v15, s[0:1]
	v_cmp_le_u32_e32 vcc, s13, v9
	v_add_co_u32_e64 v19, s[0:1], 1, v14
	v_cndmask_b32_e64 v11, 0, -1, vcc
	v_cmp_le_u32_e32 vcc, s12, v8
	v_addc_co_u32_e64 v20, s[0:1], 0, v15, s[0:1]
	v_cndmask_b32_e64 v8, 0, -1, vcc
	v_cmp_eq_u32_e32 vcc, s13, v9
	v_cmp_ne_u32_e64 s[0:1], 0, v16
	v_cndmask_b32_e32 v8, v11, v8, vcc
	v_cndmask_b32_e64 v16, v20, v18, s[0:1]
	v_cmp_ne_u32_e32 vcc, 0, v8
	v_cndmask_b32_e64 v9, v19, v17, s[0:1]
	v_cndmask_b32_e32 v8, v15, v16, vcc
	v_cndmask_b32_e32 v9, v14, v9, vcc
	v_xor_b32_e32 v11, v8, v10
	v_xor_b32_e32 v8, v9, v10
	v_sub_co_u32_e32 v8, vcc, v8, v10
	v_subb_co_u32_e32 v9, vcc, v11, v10, vcc
.LBB7_15:
	s_andn2_saveexec_b64 s[0:1], s[2:3]
	s_cbranch_execz .LBB7_17
; %bb.16:
	v_cvt_f32_u32_e32 v8, s19
	s_sub_i32 s2, 0, s19
	v_rcp_iflag_f32_e32 v8, v8
	v_mul_f32_e32 v8, 0x4f7ffffe, v8
	v_cvt_u32_f32_e32 v8, v8
	v_mul_lo_u32 v9, s2, v8
	v_mul_hi_u32 v9, v8, v9
	v_add_u32_e32 v8, v8, v9
	v_mul_hi_u32 v8, v4, v8
	v_mul_lo_u32 v9, v8, s19
	v_add_u32_e32 v10, 1, v8
	v_sub_u32_e32 v9, v4, v9
	v_subrev_u32_e32 v11, s19, v9
	v_cmp_le_u32_e32 vcc, s19, v9
	v_cndmask_b32_e32 v9, v9, v11, vcc
	v_cndmask_b32_e32 v8, v8, v10, vcc
	v_add_u32_e32 v10, 1, v8
	v_cmp_le_u32_e32 vcc, s19, v9
	v_cndmask_b32_e32 v8, v8, v10, vcc
	v_mov_b32_e32 v9, 0
.LBB7_17:
	s_or_b64 exec, exec, s[0:1]
	v_mul_lo_u32 v14, s18, v8
	v_mul_lo_u32 v15, s19, v9
	v_mad_u64_u32 v[10:11], s[0:1], s19, v8, 0
	v_add3_u32 v11, v11, v15, v14
	v_sub_co_u32_e32 v10, vcc, v4, v10
	v_subb_co_u32_e32 v11, vcc, v5, v11, vcc
	v_or_b32_e32 v5, s17, v11
	v_mov_b32_e32 v4, 0
	v_cmp_ne_u64_e32 vcc, 0, v[4:5]
                                        ; implicit-def: $vgpr4_vgpr5
	s_and_saveexec_b64 s[0:1], vcc
	s_xor_b64 s[2:3], exec, s[0:1]
	s_cbranch_execz .LBB7_19
; %bb.18:
	s_ashr_i32 s6, s17, 31
	s_add_u32 s0, s16, s6
	s_mov_b32 s7, s6
	s_addc_u32 s1, s17, s6
	s_xor_b64 s[12:13], s[0:1], s[6:7]
	v_cvt_f32_u32_e32 v4, s12
	v_cvt_f32_u32_e32 v5, s13
	s_sub_u32 s7, 0, s12
	s_subb_u32 s18, 0, s13
	v_ashrrev_i32_e32 v16, 31, v11
	v_madmk_f32 v4, v5, 0x4f800000, v4
	v_rcp_f32_e32 v4, v4
	v_mul_f32_e32 v4, 0x5f7ffffc, v4
	v_mul_f32_e32 v5, 0x2f800000, v4
	v_trunc_f32_e32 v5, v5
	v_madmk_f32 v4, v5, 0xcf800000, v4
	v_cvt_u32_f32_e32 v5, v5
	v_cvt_u32_f32_e32 v4, v4
	v_readfirstlane_b32 s19, v5
	v_readfirstlane_b32 s0, v4
	s_mul_i32 s1, s7, s19
	s_mul_hi_u32 s25, s7, s0
	s_mul_i32 s24, s18, s0
	s_add_i32 s1, s25, s1
	s_add_i32 s1, s1, s24
	s_mul_i32 s26, s7, s0
	s_mul_i32 s25, s0, s1
	s_mul_hi_u32 s27, s0, s26
	s_mul_hi_u32 s24, s0, s1
	s_add_u32 s25, s27, s25
	s_addc_u32 s24, 0, s24
	s_mul_hi_u32 s28, s19, s26
	s_mul_i32 s26, s19, s26
	s_add_u32 s25, s25, s26
	s_mul_hi_u32 s27, s19, s1
	s_addc_u32 s24, s24, s28
	s_addc_u32 s25, s27, 0
	s_mul_i32 s1, s19, s1
	s_add_u32 s1, s24, s1
	s_addc_u32 s24, 0, s25
	s_add_u32 s25, s0, s1
	s_cselect_b64 s[0:1], -1, 0
	s_cmp_lg_u64 s[0:1], 0
	s_addc_u32 s19, s19, s24
	s_mul_i32 s0, s7, s19
	s_mul_hi_u32 s1, s7, s25
	s_add_i32 s0, s1, s0
	s_mul_i32 s18, s18, s25
	s_add_i32 s0, s0, s18
	s_mul_i32 s7, s7, s25
	s_mul_hi_u32 s18, s19, s7
	s_mul_i32 s24, s19, s7
	s_mul_i32 s27, s25, s0
	s_mul_hi_u32 s7, s25, s7
	s_mul_hi_u32 s26, s25, s0
	s_add_u32 s7, s7, s27
	s_addc_u32 s26, 0, s26
	s_add_u32 s7, s7, s24
	s_mul_hi_u32 s1, s19, s0
	s_addc_u32 s7, s26, s18
	s_addc_u32 s1, s1, 0
	s_mul_i32 s0, s19, s0
	s_add_u32 s0, s7, s0
	s_addc_u32 s7, 0, s1
	s_add_u32 s18, s25, s0
	s_cselect_b64 s[0:1], -1, 0
	s_cmp_lg_u64 s[0:1], 0
	v_add_co_u32_e32 v4, vcc, v10, v16
	s_addc_u32 s7, s19, s7
	v_xor_b32_e32 v17, v4, v16
	v_mad_u64_u32 v[4:5], s[0:1], v17, s7, 0
	v_mul_hi_u32 v15, v17, s18
	v_addc_co_u32_e32 v14, vcc, v11, v16, vcc
	v_xor_b32_e32 v18, v14, v16
	v_add_co_u32_e32 v19, vcc, v15, v4
	v_addc_co_u32_e32 v20, vcc, 0, v5, vcc
	v_mad_u64_u32 v[4:5], s[0:1], v18, s18, 0
	v_mad_u64_u32 v[14:15], s[0:1], v18, s7, 0
	v_add_co_u32_e32 v4, vcc, v19, v4
	v_addc_co_u32_e32 v4, vcc, v20, v5, vcc
	v_addc_co_u32_e32 v5, vcc, 0, v15, vcc
	v_add_co_u32_e32 v14, vcc, v4, v14
	v_addc_co_u32_e32 v15, vcc, 0, v5, vcc
	v_mul_lo_u32 v19, s13, v14
	v_mul_lo_u32 v20, s12, v15
	v_mad_u64_u32 v[4:5], s[0:1], s12, v14, 0
	v_add3_u32 v5, v5, v20, v19
	v_sub_u32_e32 v19, v18, v5
	v_mov_b32_e32 v20, s13
	v_sub_co_u32_e32 v4, vcc, v17, v4
	v_subb_co_u32_e64 v17, s[0:1], v19, v20, vcc
	v_subrev_co_u32_e64 v19, s[0:1], s12, v4
	v_subbrev_co_u32_e64 v17, s[0:1], 0, v17, s[0:1]
	v_cmp_le_u32_e64 s[0:1], s13, v17
	v_cndmask_b32_e64 v20, 0, -1, s[0:1]
	v_cmp_le_u32_e64 s[0:1], s12, v19
	v_cndmask_b32_e64 v19, 0, -1, s[0:1]
	v_cmp_eq_u32_e64 s[0:1], s13, v17
	v_cndmask_b32_e64 v17, v20, v19, s[0:1]
	v_add_co_u32_e64 v19, s[0:1], 2, v14
	v_subb_co_u32_e32 v5, vcc, v18, v5, vcc
	v_addc_co_u32_e64 v20, s[0:1], 0, v15, s[0:1]
	v_cmp_le_u32_e32 vcc, s13, v5
	v_add_co_u32_e64 v21, s[0:1], 1, v14
	v_cndmask_b32_e64 v18, 0, -1, vcc
	v_cmp_le_u32_e32 vcc, s12, v4
	v_addc_co_u32_e64 v22, s[0:1], 0, v15, s[0:1]
	v_cndmask_b32_e64 v4, 0, -1, vcc
	v_cmp_eq_u32_e32 vcc, s13, v5
	v_cmp_ne_u32_e64 s[0:1], 0, v17
	v_cndmask_b32_e32 v4, v18, v4, vcc
	v_cndmask_b32_e64 v17, v22, v20, s[0:1]
	v_cmp_ne_u32_e32 vcc, 0, v4
	v_cndmask_b32_e64 v5, v21, v19, s[0:1]
	v_cndmask_b32_e32 v4, v15, v17, vcc
	v_cndmask_b32_e32 v5, v14, v5, vcc
	v_xor_b32_e32 v14, s6, v16
	v_xor_b32_e32 v15, v4, v14
	;; [unrolled: 1-line block ×3, first 2 shown]
	v_sub_co_u32_e32 v4, vcc, v4, v14
	v_subb_co_u32_e32 v5, vcc, v15, v14, vcc
.LBB7_19:
	s_andn2_saveexec_b64 s[0:1], s[2:3]
	s_cbranch_execz .LBB7_21
; %bb.20:
	v_cvt_f32_u32_e32 v4, s16
	s_sub_i32 s2, 0, s16
	v_rcp_iflag_f32_e32 v4, v4
	v_mul_f32_e32 v4, 0x4f7ffffe, v4
	v_cvt_u32_f32_e32 v4, v4
	v_mul_lo_u32 v5, s2, v4
	v_mul_hi_u32 v5, v4, v5
	v_add_u32_e32 v4, v4, v5
	v_mul_hi_u32 v4, v10, v4
	v_mul_lo_u32 v5, v4, s16
	v_add_u32_e32 v14, 1, v4
	v_sub_u32_e32 v5, v10, v5
	v_subrev_u32_e32 v15, s16, v5
	v_cmp_le_u32_e32 vcc, s16, v5
	v_cndmask_b32_e32 v5, v5, v15, vcc
	v_cndmask_b32_e32 v4, v4, v14, vcc
	v_add_u32_e32 v14, 1, v4
	v_cmp_le_u32_e32 vcc, s16, v5
	v_cndmask_b32_e32 v4, v4, v14, vcc
	v_mov_b32_e32 v5, 0
.LBB7_21:
	s_or_b64 exec, exec, s[0:1]
	v_mul_lo_u32 v16, s17, v4
	v_mul_lo_u32 v17, s16, v5
	v_mad_u64_u32 v[14:15], s[0:1], s16, v4, 0
	v_add3_u32 v15, v15, v17, v16
	v_sub_co_u32_e32 v14, vcc, v10, v14
	v_subb_co_u32_e32 v15, vcc, v11, v15, vcc
	v_or_b32_e32 v11, s41, v15
	v_mov_b32_e32 v10, 0
	v_cmp_ne_u64_e32 vcc, 0, v[10:11]
                                        ; implicit-def: $vgpr10_vgpr11
	s_and_saveexec_b64 s[0:1], vcc
	s_xor_b64 s[2:3], exec, s[0:1]
	s_cbranch_execz .LBB7_23
; %bb.22:
	s_ashr_i32 s6, s41, 31
	s_add_u32 s0, s40, s6
	s_mov_b32 s7, s6
	s_addc_u32 s1, s41, s6
	s_xor_b64 s[12:13], s[0:1], s[6:7]
	v_cvt_f32_u32_e32 v10, s12
	v_cvt_f32_u32_e32 v11, s13
	s_sub_u32 s7, 0, s12
	s_subb_u32 s16, 0, s13
	v_ashrrev_i32_e32 v18, 31, v15
	v_madmk_f32 v10, v11, 0x4f800000, v10
	v_rcp_f32_e32 v10, v10
	v_mul_f32_e32 v10, 0x5f7ffffc, v10
	v_mul_f32_e32 v11, 0x2f800000, v10
	v_trunc_f32_e32 v11, v11
	v_madmk_f32 v10, v11, 0xcf800000, v10
	v_cvt_u32_f32_e32 v11, v11
	v_cvt_u32_f32_e32 v10, v10
	v_readfirstlane_b32 s17, v11
	v_readfirstlane_b32 s0, v10
	s_mul_i32 s1, s7, s17
	s_mul_hi_u32 s19, s7, s0
	s_mul_i32 s18, s16, s0
	s_add_i32 s1, s19, s1
	s_add_i32 s1, s1, s18
	s_mul_i32 s24, s7, s0
	s_mul_i32 s19, s0, s1
	s_mul_hi_u32 s25, s0, s24
	s_mul_hi_u32 s18, s0, s1
	s_add_u32 s19, s25, s19
	s_addc_u32 s18, 0, s18
	s_mul_hi_u32 s26, s17, s24
	s_mul_i32 s24, s17, s24
	s_add_u32 s19, s19, s24
	s_mul_hi_u32 s25, s17, s1
	s_addc_u32 s18, s18, s26
	s_addc_u32 s19, s25, 0
	s_mul_i32 s1, s17, s1
	s_add_u32 s1, s18, s1
	s_addc_u32 s18, 0, s19
	s_add_u32 s19, s0, s1
	s_cselect_b64 s[0:1], -1, 0
	s_cmp_lg_u64 s[0:1], 0
	s_addc_u32 s17, s17, s18
	s_mul_i32 s0, s7, s17
	s_mul_hi_u32 s1, s7, s19
	s_add_i32 s0, s1, s0
	s_mul_i32 s16, s16, s19
	s_add_i32 s0, s0, s16
	s_mul_i32 s7, s7, s19
	s_mul_hi_u32 s16, s17, s7
	s_mul_i32 s18, s17, s7
	s_mul_i32 s25, s19, s0
	s_mul_hi_u32 s7, s19, s7
	s_mul_hi_u32 s24, s19, s0
	s_add_u32 s7, s7, s25
	s_addc_u32 s24, 0, s24
	s_add_u32 s7, s7, s18
	s_mul_hi_u32 s1, s17, s0
	s_addc_u32 s7, s24, s16
	s_addc_u32 s1, s1, 0
	s_mul_i32 s0, s17, s0
	s_add_u32 s0, s7, s0
	s_addc_u32 s7, 0, s1
	s_add_u32 s16, s19, s0
	s_cselect_b64 s[0:1], -1, 0
	s_cmp_lg_u64 s[0:1], 0
	v_add_co_u32_e32 v10, vcc, v14, v18
	s_addc_u32 s7, s17, s7
	v_xor_b32_e32 v19, v10, v18
	v_mad_u64_u32 v[10:11], s[0:1], v19, s7, 0
	v_mul_hi_u32 v17, v19, s16
	v_addc_co_u32_e32 v16, vcc, v15, v18, vcc
	v_xor_b32_e32 v20, v16, v18
	v_add_co_u32_e32 v21, vcc, v17, v10
	v_addc_co_u32_e32 v22, vcc, 0, v11, vcc
	v_mad_u64_u32 v[10:11], s[0:1], v20, s16, 0
	v_mad_u64_u32 v[16:17], s[0:1], v20, s7, 0
	v_add_co_u32_e32 v10, vcc, v21, v10
	v_addc_co_u32_e32 v10, vcc, v22, v11, vcc
	v_addc_co_u32_e32 v11, vcc, 0, v17, vcc
	v_add_co_u32_e32 v16, vcc, v10, v16
	v_addc_co_u32_e32 v17, vcc, 0, v11, vcc
	v_mul_lo_u32 v21, s13, v16
	v_mul_lo_u32 v22, s12, v17
	v_mad_u64_u32 v[10:11], s[0:1], s12, v16, 0
	v_add3_u32 v11, v11, v22, v21
	v_sub_u32_e32 v21, v20, v11
	v_mov_b32_e32 v22, s13
	v_sub_co_u32_e32 v10, vcc, v19, v10
	v_subb_co_u32_e64 v19, s[0:1], v21, v22, vcc
	v_subrev_co_u32_e64 v21, s[0:1], s12, v10
	v_subbrev_co_u32_e64 v19, s[0:1], 0, v19, s[0:1]
	v_cmp_le_u32_e64 s[0:1], s13, v19
	v_cndmask_b32_e64 v22, 0, -1, s[0:1]
	v_cmp_le_u32_e64 s[0:1], s12, v21
	v_cndmask_b32_e64 v21, 0, -1, s[0:1]
	v_cmp_eq_u32_e64 s[0:1], s13, v19
	v_cndmask_b32_e64 v19, v22, v21, s[0:1]
	v_add_co_u32_e64 v21, s[0:1], 2, v16
	v_subb_co_u32_e32 v11, vcc, v20, v11, vcc
	v_addc_co_u32_e64 v22, s[0:1], 0, v17, s[0:1]
	v_cmp_le_u32_e32 vcc, s13, v11
	v_add_co_u32_e64 v23, s[0:1], 1, v16
	v_cndmask_b32_e64 v20, 0, -1, vcc
	v_cmp_le_u32_e32 vcc, s12, v10
	v_addc_co_u32_e64 v24, s[0:1], 0, v17, s[0:1]
	v_cndmask_b32_e64 v10, 0, -1, vcc
	v_cmp_eq_u32_e32 vcc, s13, v11
	v_cmp_ne_u32_e64 s[0:1], 0, v19
	v_cndmask_b32_e32 v10, v20, v10, vcc
	v_cndmask_b32_e64 v19, v24, v22, s[0:1]
	v_cmp_ne_u32_e32 vcc, 0, v10
	v_cndmask_b32_e64 v11, v23, v21, s[0:1]
	v_cndmask_b32_e32 v10, v17, v19, vcc
	v_cndmask_b32_e32 v11, v16, v11, vcc
	v_xor_b32_e32 v16, s6, v18
	v_xor_b32_e32 v17, v10, v16
	;; [unrolled: 1-line block ×3, first 2 shown]
	v_sub_co_u32_e32 v10, vcc, v10, v16
	v_subb_co_u32_e32 v11, vcc, v17, v16, vcc
.LBB7_23:
	s_andn2_saveexec_b64 s[0:1], s[2:3]
	s_cbranch_execz .LBB7_25
; %bb.24:
	v_cvt_f32_u32_e32 v10, s40
	s_sub_i32 s2, 0, s40
	v_rcp_iflag_f32_e32 v10, v10
	v_mul_f32_e32 v10, 0x4f7ffffe, v10
	v_cvt_u32_f32_e32 v10, v10
	v_mul_lo_u32 v11, s2, v10
	v_mul_hi_u32 v11, v10, v11
	v_add_u32_e32 v10, v10, v11
	v_mul_hi_u32 v10, v14, v10
	v_mul_lo_u32 v11, v10, s40
	v_add_u32_e32 v16, 1, v10
	v_sub_u32_e32 v11, v14, v11
	v_subrev_u32_e32 v17, s40, v11
	v_cmp_le_u32_e32 vcc, s40, v11
	v_cndmask_b32_e32 v11, v11, v17, vcc
	v_cndmask_b32_e32 v10, v10, v16, vcc
	v_add_u32_e32 v16, 1, v10
	v_cmp_le_u32_e32 vcc, s40, v11
	v_cndmask_b32_e32 v10, v10, v16, vcc
	v_mov_b32_e32 v11, 0
.LBB7_25:
	s_or_b64 exec, exec, s[0:1]
	v_mul_lo_u32 v18, v7, s14
	v_mul_lo_u32 v19, v6, s15
	v_mad_u64_u32 v[16:17], s[0:1], v6, s14, 0
	v_mul_lo_u32 v7, v7, s22
	v_mul_lo_u32 v3, v3, s36
	v_add3_u32 v17, v17, v19, v18
	v_sub_co_u32_e32 v12, vcc, v12, v16
	v_subb_co_u32_e32 v13, vcc, v13, v17, vcc
	v_ashrrev_i32_e32 v16, 31, v13
	v_lshrrev_b32_e32 v16, 27, v16
	v_add_co_u32_e32 v12, vcc, v12, v16
	v_addc_co_u32_e32 v13, vcc, 0, v13, vcc
	v_ashrrev_i64 v[12:13], 5, v[12:13]
	v_mov_b32_e32 v16, s8
	v_mov_b32_e32 v17, s9
	v_mul_lo_u32 v18, v12, s21
	v_mul_lo_u32 v19, v13, s20
	v_mad_u64_u32 v[12:13], s[0:1], v12, s20, v[16:17]
	v_mul_lo_u32 v1, v1, s38
	v_mul_lo_u32 v17, v11, s40
	v_add3_u32 v13, v19, v13, v18
	v_mad_u64_u32 v[12:13], s[0:1], v6, s22, v[12:13]
	v_mul_lo_u32 v6, v6, s23
	v_mul_lo_u32 v18, v10, s41
	v_mul_lo_u32 v11, v11, s48
	v_mul_lo_u32 v5, v5, s50
	v_add3_u32 v13, v7, v13, v6
	v_mad_u64_u32 v[6:7], s[0:1], v2, s36, v[12:13]
	v_mul_lo_u32 v2, v2, s37
	v_add3_u32 v7, v3, v7, v2
	v_mad_u64_u32 v[2:3], s[0:1], v0, s38, v[6:7]
	v_mul_lo_u32 v0, v0, s39
	v_mov_b32_e32 v6, s10
	v_mov_b32_e32 v7, s11
	v_add3_u32 v3, v1, v3, v0
	global_load_dword v12, v[2:3], off
	global_load_ushort v13, v[2:3], off offset:4
	global_load_ubyte v16, v[2:3], off offset:6
	v_mad_u64_u32 v[0:1], s[0:1], v10, s40, 0
	v_add3_u32 v1, v1, v18, v17
	v_sub_co_u32_e32 v0, vcc, v14, v0
	v_subb_co_u32_e32 v14, vcc, v15, v1, vcc
	v_mul_lo_u32 v15, v0, s47
	v_mad_u64_u32 v[0:1], s[0:1], v0, s46, v[6:7]
	v_mul_lo_u32 v6, v14, s46
	v_mul_lo_u32 v7, v10, s49
	v_add3_u32 v1, v6, v1, v15
	v_mad_u64_u32 v[0:1], s[0:1], v10, s48, v[0:1]
	s_load_dwordx2 s[0:1], s[4:5], 0x80
	v_mul_lo_u32 v6, v4, s51
	v_add3_u32 v1, v11, v1, v7
	v_mad_u64_u32 v[0:1], s[2:3], v4, s50, v[0:1]
	v_mov_b32_e32 v4, 4
	s_waitcnt lgkmcnt(0)
	v_mul_lo_u32 v7, v8, s1
	v_add3_u32 v1, v5, v1, v6
	v_mul_lo_u32 v9, v9, s0
	v_mad_u64_u32 v[0:1], s[0:1], v8, s0, v[0:1]
	v_add3_u32 v1, v9, v1, v7
	v_mov_b32_e32 v7, 3
	s_waitcnt vmcnt(2)
	v_lshlrev_b32_sdwa v4, v4, v12 dst_sel:DWORD dst_unused:UNUSED_PAD src0_sel:DWORD src1_sel:WORD_1
	s_waitcnt vmcnt(1)
	v_lshlrev_b32_e32 v6, 4, v13
	s_waitcnt vmcnt(0)
	v_lshrrev_b16_e32 v8, 4, v16
	v_or_b32_e32 v10, -16, v16
	v_and_b32_e32 v4, 16, v4
	v_and_b32_e32 v6, 16, v6
	v_or_b32_e32 v8, -16, v8
	v_add_u32_e32 v4, v10, v4
	v_cvt_f32_f16_e32 v5, v12
	v_add_u32_sdwa v6, v6, sext(v8) dst_sel:DWORD dst_unused:UNUSED_PAD src0_sel:DWORD src1_sel:WORD_0
	v_cvt_f32_i32_e32 v4, v4
	v_cvt_f32_i32_e32 v6, v6
	v_mul_f32_e32 v4, v5, v4
	v_mul_f32_e32 v5, v5, v6
	global_store_dword v[0:1], v4, off
	global_store_dword v[0:1], v5, off offset:64
	global_load_dword v4, v[2:3], off
	s_nop 0
	global_load_ushort v5, v[2:3], off offset:4
	global_load_ubyte v6, v[2:3], off offset:7
	s_waitcnt vmcnt(2)
	v_cvt_f32_f16_e32 v8, v4
	v_lshlrev_b32_sdwa v4, v7, v4 dst_sel:DWORD dst_unused:UNUSED_PAD src0_sel:DWORD src1_sel:WORD_1
	s_waitcnt vmcnt(1)
	v_lshlrev_b32_e32 v5, 3, v5
	s_waitcnt vmcnt(0)
	v_lshrrev_b16_e32 v7, 4, v6
	v_or_b32_e32 v6, -16, v6
	v_and_b32_e32 v4, 16, v4
	v_and_b32_e32 v5, 16, v5
	v_or_b32_e32 v7, -16, v7
	v_add_u32_e32 v4, v6, v4
	v_add_u32_sdwa v5, v5, sext(v7) dst_sel:DWORD dst_unused:UNUSED_PAD src0_sel:DWORD src1_sel:WORD_0
	v_cvt_f32_i32_e32 v4, v4
	v_cvt_f32_i32_e32 v5, v5
	v_mov_b32_e32 v7, 2
	v_mul_f32_e32 v4, v8, v4
	v_mul_f32_e32 v5, v8, v5
	global_store_dword v[0:1], v4, off offset:4
	global_store_dword v[0:1], v5, off offset:68
	global_load_dword v4, v[2:3], off
	s_nop 0
	global_load_ushort v5, v[2:3], off offset:4
	global_load_ubyte v6, v[2:3], off offset:8
	s_waitcnt vmcnt(2)
	v_cvt_f32_f16_e32 v8, v4
	v_lshlrev_b32_sdwa v4, v7, v4 dst_sel:DWORD dst_unused:UNUSED_PAD src0_sel:DWORD src1_sel:WORD_1
	s_waitcnt vmcnt(1)
	v_lshlrev_b32_e32 v5, 2, v5
	s_waitcnt vmcnt(0)
	v_lshrrev_b16_e32 v7, 4, v6
	v_or_b32_e32 v6, -16, v6
	v_and_b32_e32 v4, 16, v4
	v_and_b32_e32 v5, 16, v5
	v_or_b32_e32 v7, -16, v7
	v_add_u32_e32 v4, v6, v4
	v_add_u32_sdwa v5, v5, sext(v7) dst_sel:DWORD dst_unused:UNUSED_PAD src0_sel:DWORD src1_sel:WORD_0
	v_cvt_f32_i32_e32 v4, v4
	v_cvt_f32_i32_e32 v5, v5
	v_mov_b32_e32 v7, 1
	v_mul_f32_e32 v4, v8, v4
	v_mul_f32_e32 v5, v8, v5
	global_store_dword v[0:1], v4, off offset:8
	global_store_dword v[0:1], v5, off offset:72
	global_load_dword v4, v[2:3], off
	s_nop 0
	global_load_ushort v5, v[2:3], off offset:4
	global_load_ubyte v6, v[2:3], off offset:9
	s_waitcnt vmcnt(2)
	v_cvt_f32_f16_e32 v8, v4
	v_lshlrev_b32_sdwa v4, v7, v4 dst_sel:DWORD dst_unused:UNUSED_PAD src0_sel:DWORD src1_sel:WORD_1
	s_waitcnt vmcnt(1)
	v_lshlrev_b32_e32 v5, 1, v5
	s_waitcnt vmcnt(0)
	v_lshrrev_b16_e32 v7, 4, v6
	v_or_b32_e32 v6, -16, v6
	v_and_b32_e32 v4, 16, v4
	v_and_b32_e32 v5, 16, v5
	v_or_b32_e32 v7, -16, v7
	v_add_u32_e32 v4, v6, v4
	v_add_u32_sdwa v5, v5, sext(v7) dst_sel:DWORD dst_unused:UNUSED_PAD src0_sel:DWORD src1_sel:WORD_0
	v_cvt_f32_i32_e32 v4, v4
	v_cvt_f32_i32_e32 v5, v5
	v_mul_f32_e32 v4, v8, v4
	v_mul_f32_e32 v5, v8, v5
	global_store_dword v[0:1], v4, off offset:12
	global_store_dword v[0:1], v5, off offset:76
	global_load_ubyte v5, v[2:3], off offset:10
	s_nop 0
	global_load_dword v6, v[2:3], off
	global_load_ushort v7, v[2:3], off offset:4
	v_mov_b32_e32 v4, 16
	s_waitcnt vmcnt(2)
	v_lshrrev_b16_e32 v9, 4, v5
	s_waitcnt vmcnt(1)
	v_cvt_f32_f16_e32 v8, v6
	v_and_b32_sdwa v6, v6, v4 dst_sel:DWORD dst_unused:UNUSED_PAD src0_sel:WORD_1 src1_sel:DWORD
	v_or_b32_e32 v5, -16, v5
	s_waitcnt vmcnt(0)
	v_and_b32_e32 v7, 16, v7
	v_add_u32_e32 v5, v5, v6
	v_or_b32_e32 v6, -16, v9
	v_cvt_f32_i32_e32 v5, v5
	v_add_u32_sdwa v6, sext(v6), v7 dst_sel:DWORD dst_unused:UNUSED_PAD src0_sel:WORD_0 src1_sel:WORD_0
	v_cvt_f32_i32_e32 v6, v6
	v_mul_f32_e32 v5, v8, v5
	v_mul_f32_e32 v6, v8, v6
	global_store_dword v[0:1], v5, off offset:16
	global_store_dword v[0:1], v6, off offset:80
	global_load_ubyte v5, v[2:3], off offset:11
	s_nop 0
	global_load_dword v6, v[2:3], off
	global_load_ushort v7, v[2:3], off offset:4
	s_waitcnt vmcnt(2)
	v_lshrrev_b16_e32 v9, 4, v5
	s_waitcnt vmcnt(1)
	v_cvt_f32_f16_e32 v8, v6
	v_lshrrev_b32_e32 v6, 17, v6
	s_waitcnt vmcnt(0)
	v_lshrrev_b16_e32 v7, 1, v7
	v_or_b32_e32 v5, -16, v5
	v_and_b32_e32 v6, 16, v6
	v_and_b32_e32 v7, 16, v7
	v_or_b32_e32 v9, -16, v9
	v_add_u32_sdwa v5, v5, v6 dst_sel:DWORD dst_unused:UNUSED_PAD src0_sel:DWORD src1_sel:WORD_0
	v_add_u32_sdwa v6, sext(v9), v7 dst_sel:DWORD dst_unused:UNUSED_PAD src0_sel:WORD_0 src1_sel:WORD_0
	v_cvt_f32_i32_e32 v5, v5
	v_cvt_f32_i32_e32 v6, v6
	v_mul_f32_e32 v5, v8, v5
	v_mul_f32_e32 v6, v8, v6
	global_store_dword v[0:1], v5, off offset:20
	global_store_dword v[0:1], v6, off offset:84
	global_load_ubyte v5, v[2:3], off offset:12
	s_nop 0
	global_load_dword v6, v[2:3], off
	global_load_ushort v7, v[2:3], off offset:4
	s_waitcnt vmcnt(2)
	v_lshrrev_b16_e32 v9, 4, v5
	s_waitcnt vmcnt(1)
	v_cvt_f32_f16_e32 v8, v6
	v_lshrrev_b32_e32 v6, 18, v6
	s_waitcnt vmcnt(0)
	v_lshrrev_b16_e32 v7, 2, v7
	v_or_b32_e32 v5, -16, v5
	v_and_b32_e32 v6, 16, v6
	v_and_b32_e32 v7, 16, v7
	v_or_b32_e32 v9, -16, v9
	v_add_u32_sdwa v5, v5, v6 dst_sel:DWORD dst_unused:UNUSED_PAD src0_sel:DWORD src1_sel:WORD_0
	v_add_u32_sdwa v6, sext(v9), v7 dst_sel:DWORD dst_unused:UNUSED_PAD src0_sel:WORD_0 src1_sel:WORD_0
	v_cvt_f32_i32_e32 v5, v5
	;; [unrolled: 23-line block ×7, first 2 shown]
	v_cvt_f32_i32_e32 v6, v6
	v_mul_f32_e32 v5, v8, v5
	v_mul_f32_e32 v6, v8, v6
	global_store_dword v[0:1], v5, off offset:44
	global_store_dword v[0:1], v6, off offset:108
	global_load_ubyte v5, v[2:3], off offset:18
	s_nop 0
	global_load_dword v6, v[2:3], off
	global_load_ubyte v7, v[2:3], off offset:5
	s_waitcnt vmcnt(1)
	v_cvt_f32_f16_e32 v8, v6
	v_and_b32_sdwa v4, v6, v4 dst_sel:DWORD dst_unused:UNUSED_PAD src0_sel:BYTE_3 src1_sel:DWORD
	s_waitcnt vmcnt(0)
	v_and_b32_e32 v6, 16, v7
	v_lshrrev_b16_e32 v7, 4, v5
	v_or_b32_e32 v5, -16, v5
	v_add_u32_sdwa v4, v5, v4 dst_sel:DWORD dst_unused:UNUSED_PAD src0_sel:DWORD src1_sel:WORD_0
	v_or_b32_e32 v5, -16, v7
	v_cvt_f32_i32_e32 v4, v4
	v_add_u32_sdwa v5, sext(v5), v6 dst_sel:DWORD dst_unused:UNUSED_PAD src0_sel:WORD_0 src1_sel:WORD_0
	v_cvt_f32_i32_e32 v5, v5
	v_mul_f32_e32 v4, v8, v4
	v_mul_f32_e32 v5, v8, v5
	global_store_dword v[0:1], v4, off offset:48
	global_store_dword v[0:1], v5, off offset:112
	global_load_ubyte v4, v[2:3], off offset:19
	s_nop 0
	global_load_dword v5, v[2:3], off
	global_load_ushort v6, v[2:3], off offset:4
	s_waitcnt vmcnt(2)
	v_lshrrev_b16_e32 v8, 4, v4
	s_waitcnt vmcnt(1)
	v_cvt_f32_f16_e32 v7, v5
	v_lshrrev_b32_e32 v5, 25, v5
	s_waitcnt vmcnt(0)
	v_lshrrev_b16_e32 v6, 9, v6
	v_or_b32_e32 v4, -16, v4
	v_and_b32_e32 v5, 16, v5
	v_and_b32_e32 v6, 16, v6
	v_or_b32_e32 v8, -16, v8
	v_add_u32_sdwa v4, v4, v5 dst_sel:DWORD dst_unused:UNUSED_PAD src0_sel:DWORD src1_sel:WORD_0
	v_add_u32_sdwa v5, sext(v8), v6 dst_sel:DWORD dst_unused:UNUSED_PAD src0_sel:WORD_0 src1_sel:WORD_0
	v_cvt_f32_i32_e32 v4, v4
	v_cvt_f32_i32_e32 v5, v5
	v_mul_f32_e32 v4, v7, v4
	v_mul_f32_e32 v5, v7, v5
	global_store_dword v[0:1], v4, off offset:52
	global_store_dword v[0:1], v5, off offset:116
	global_load_ubyte v4, v[2:3], off offset:20
	s_nop 0
	global_load_dword v5, v[2:3], off
	global_load_ushort v6, v[2:3], off offset:4
	s_waitcnt vmcnt(2)
	v_lshrrev_b16_e32 v8, 4, v4
	s_waitcnt vmcnt(1)
	v_cvt_f32_f16_e32 v7, v5
	v_lshrrev_b32_e32 v5, 26, v5
	s_waitcnt vmcnt(0)
	v_lshrrev_b16_e32 v6, 10, v6
	v_or_b32_e32 v4, -16, v4
	v_and_b32_e32 v5, 16, v5
	v_and_b32_e32 v6, 16, v6
	v_or_b32_e32 v8, -16, v8
	v_add_u32_sdwa v4, v4, v5 dst_sel:DWORD dst_unused:UNUSED_PAD src0_sel:DWORD src1_sel:WORD_0
	v_add_u32_sdwa v5, sext(v8), v6 dst_sel:DWORD dst_unused:UNUSED_PAD src0_sel:WORD_0 src1_sel:WORD_0
	v_cvt_f32_i32_e32 v4, v4
	v_cvt_f32_i32_e32 v5, v5
	v_mul_f32_e32 v4, v7, v4
	v_mul_f32_e32 v5, v7, v5
	global_store_dword v[0:1], v4, off offset:56
	global_store_dword v[0:1], v5, off offset:120
	global_load_ubyte v4, v[2:3], off offset:21
	s_nop 0
	global_load_dword v5, v[2:3], off
	global_load_ushort v6, v[2:3], off offset:4
	s_waitcnt vmcnt(1)
	v_lshrrev_b32_e32 v3, 27, v5
	v_cvt_f32_f16_e32 v2, v5
	s_waitcnt vmcnt(0)
	v_lshrrev_b16_e32 v5, 11, v6
	v_lshrrev_b16_e32 v6, 4, v4
	v_or_b32_e32 v4, -16, v4
	v_and_b32_e32 v3, 16, v3
	v_and_b32_e32 v5, 16, v5
	v_or_b32_e32 v6, -16, v6
	v_add_u32_sdwa v3, v4, v3 dst_sel:DWORD dst_unused:UNUSED_PAD src0_sel:DWORD src1_sel:WORD_0
	v_add_u32_sdwa v4, sext(v6), v5 dst_sel:DWORD dst_unused:UNUSED_PAD src0_sel:WORD_0 src1_sel:WORD_0
	v_cvt_f32_i32_e32 v3, v3
	v_cvt_f32_i32_e32 v4, v4
	v_mul_f32_e32 v3, v2, v3
	v_mul_f32_e32 v2, v2, v4
	global_store_dword v[0:1], v3, off offset:60
	global_store_dword v[0:1], v2, off offset:124
.LBB7_26:
	s_endpgm
	.section	.rodata,"a",@progbits
	.p2align	6, 0x0
	.amdhsa_kernel _ZL9cpy_q_f32IXadL_ZL14cpy_blck_q_f32IXadL_ZL15dequantize_q5_0PKvliR15HIP_vector_typeIfLj2EEEELi32EEvPKcPcEELi32EEvS7_S8_lllllllllllllll
		.amdhsa_group_segment_fixed_size 0
		.amdhsa_private_segment_fixed_size 0
		.amdhsa_kernarg_size 392
		.amdhsa_user_sgpr_count 6
		.amdhsa_user_sgpr_private_segment_buffer 1
		.amdhsa_user_sgpr_dispatch_ptr 0
		.amdhsa_user_sgpr_queue_ptr 0
		.amdhsa_user_sgpr_kernarg_segment_ptr 1
		.amdhsa_user_sgpr_dispatch_id 0
		.amdhsa_user_sgpr_flat_scratch_init 0
		.amdhsa_user_sgpr_private_segment_size 0
		.amdhsa_uses_dynamic_stack 0
		.amdhsa_system_sgpr_private_segment_wavefront_offset 0
		.amdhsa_system_sgpr_workgroup_id_x 1
		.amdhsa_system_sgpr_workgroup_id_y 0
		.amdhsa_system_sgpr_workgroup_id_z 0
		.amdhsa_system_sgpr_workgroup_info 0
		.amdhsa_system_vgpr_workitem_id 0
		.amdhsa_next_free_vgpr 25
		.amdhsa_next_free_sgpr 52
		.amdhsa_reserve_vcc 1
		.amdhsa_reserve_flat_scratch 0
		.amdhsa_float_round_mode_32 0
		.amdhsa_float_round_mode_16_64 0
		.amdhsa_float_denorm_mode_32 3
		.amdhsa_float_denorm_mode_16_64 3
		.amdhsa_dx10_clamp 1
		.amdhsa_ieee_mode 1
		.amdhsa_fp16_overflow 0
		.amdhsa_exception_fp_ieee_invalid_op 0
		.amdhsa_exception_fp_denorm_src 0
		.amdhsa_exception_fp_ieee_div_zero 0
		.amdhsa_exception_fp_ieee_overflow 0
		.amdhsa_exception_fp_ieee_underflow 0
		.amdhsa_exception_fp_ieee_inexact 0
		.amdhsa_exception_int_div_zero 0
	.end_amdhsa_kernel
	.section	.text._ZL9cpy_q_f32IXadL_ZL14cpy_blck_q_f32IXadL_ZL15dequantize_q5_0PKvliR15HIP_vector_typeIfLj2EEEELi32EEvPKcPcEELi32EEvS7_S8_lllllllllllllll,"axG",@progbits,_ZL9cpy_q_f32IXadL_ZL14cpy_blck_q_f32IXadL_ZL15dequantize_q5_0PKvliR15HIP_vector_typeIfLj2EEEELi32EEvPKcPcEELi32EEvS7_S8_lllllllllllllll,comdat
.Lfunc_end7:
	.size	_ZL9cpy_q_f32IXadL_ZL14cpy_blck_q_f32IXadL_ZL15dequantize_q5_0PKvliR15HIP_vector_typeIfLj2EEEELi32EEvPKcPcEELi32EEvS7_S8_lllllllllllllll, .Lfunc_end7-_ZL9cpy_q_f32IXadL_ZL14cpy_blck_q_f32IXadL_ZL15dequantize_q5_0PKvliR15HIP_vector_typeIfLj2EEEELi32EEvPKcPcEELi32EEvS7_S8_lllllllllllllll
                                        ; -- End function
	.set _ZL9cpy_q_f32IXadL_ZL14cpy_blck_q_f32IXadL_ZL15dequantize_q5_0PKvliR15HIP_vector_typeIfLj2EEEELi32EEvPKcPcEELi32EEvS7_S8_lllllllllllllll.num_vgpr, 25
	.set _ZL9cpy_q_f32IXadL_ZL14cpy_blck_q_f32IXadL_ZL15dequantize_q5_0PKvliR15HIP_vector_typeIfLj2EEEELi32EEvPKcPcEELi32EEvS7_S8_lllllllllllllll.num_agpr, 0
	.set _ZL9cpy_q_f32IXadL_ZL14cpy_blck_q_f32IXadL_ZL15dequantize_q5_0PKvliR15HIP_vector_typeIfLj2EEEELi32EEvPKcPcEELi32EEvS7_S8_lllllllllllllll.numbered_sgpr, 52
	.set _ZL9cpy_q_f32IXadL_ZL14cpy_blck_q_f32IXadL_ZL15dequantize_q5_0PKvliR15HIP_vector_typeIfLj2EEEELi32EEvPKcPcEELi32EEvS7_S8_lllllllllllllll.num_named_barrier, 0
	.set _ZL9cpy_q_f32IXadL_ZL14cpy_blck_q_f32IXadL_ZL15dequantize_q5_0PKvliR15HIP_vector_typeIfLj2EEEELi32EEvPKcPcEELi32EEvS7_S8_lllllllllllllll.private_seg_size, 0
	.set _ZL9cpy_q_f32IXadL_ZL14cpy_blck_q_f32IXadL_ZL15dequantize_q5_0PKvliR15HIP_vector_typeIfLj2EEEELi32EEvPKcPcEELi32EEvS7_S8_lllllllllllllll.uses_vcc, 1
	.set _ZL9cpy_q_f32IXadL_ZL14cpy_blck_q_f32IXadL_ZL15dequantize_q5_0PKvliR15HIP_vector_typeIfLj2EEEELi32EEvPKcPcEELi32EEvS7_S8_lllllllllllllll.uses_flat_scratch, 0
	.set _ZL9cpy_q_f32IXadL_ZL14cpy_blck_q_f32IXadL_ZL15dequantize_q5_0PKvliR15HIP_vector_typeIfLj2EEEELi32EEvPKcPcEELi32EEvS7_S8_lllllllllllllll.has_dyn_sized_stack, 0
	.set _ZL9cpy_q_f32IXadL_ZL14cpy_blck_q_f32IXadL_ZL15dequantize_q5_0PKvliR15HIP_vector_typeIfLj2EEEELi32EEvPKcPcEELi32EEvS7_S8_lllllllllllllll.has_recursion, 0
	.set _ZL9cpy_q_f32IXadL_ZL14cpy_blck_q_f32IXadL_ZL15dequantize_q5_0PKvliR15HIP_vector_typeIfLj2EEEELi32EEvPKcPcEELi32EEvS7_S8_lllllllllllllll.has_indirect_call, 0
	.section	.AMDGPU.csdata,"",@progbits
; Kernel info:
; codeLenInByte = 7124
; TotalNumSgprs: 56
; NumVgprs: 25
; ScratchSize: 0
; MemoryBound: 0
; FloatMode: 240
; IeeeMode: 1
; LDSByteSize: 0 bytes/workgroup (compile time only)
; SGPRBlocks: 6
; VGPRBlocks: 6
; NumSGPRsForWavesPerEU: 56
; NumVGPRsForWavesPerEU: 25
; Occupancy: 9
; WaveLimiterHint : 0
; COMPUTE_PGM_RSRC2:SCRATCH_EN: 0
; COMPUTE_PGM_RSRC2:USER_SGPR: 6
; COMPUTE_PGM_RSRC2:TRAP_HANDLER: 0
; COMPUTE_PGM_RSRC2:TGID_X_EN: 1
; COMPUTE_PGM_RSRC2:TGID_Y_EN: 0
; COMPUTE_PGM_RSRC2:TGID_Z_EN: 0
; COMPUTE_PGM_RSRC2:TIDIG_COMP_CNT: 0
	.section	.text._ZL9cpy_f32_qIXadL_ZL17cpy_blck_f32_q5_1PKcPcEELi32EEvS1_S2_lllllllllllllll,"axG",@progbits,_ZL9cpy_f32_qIXadL_ZL17cpy_blck_f32_q5_1PKcPcEELi32EEvS1_S2_lllllllllllllll,comdat
	.globl	_ZL9cpy_f32_qIXadL_ZL17cpy_blck_f32_q5_1PKcPcEELi32EEvS1_S2_lllllllllllllll ; -- Begin function _ZL9cpy_f32_qIXadL_ZL17cpy_blck_f32_q5_1PKcPcEELi32EEvS1_S2_lllllllllllllll
	.p2align	8
	.type	_ZL9cpy_f32_qIXadL_ZL17cpy_blck_f32_q5_1PKcPcEELi32EEvS1_S2_lllllllllllllll,@function
_ZL9cpy_f32_qIXadL_ZL17cpy_blck_f32_q5_1PKcPcEELi32EEvS1_S2_lllllllllllllll: ; @_ZL9cpy_f32_qIXadL_ZL17cpy_blck_f32_q5_1PKcPcEELi32EEvS1_S2_lllllllllllllll
; %bb.0:
	s_load_dword s0, s[4:5], 0x94
	v_mov_b32_e32 v2, 0
	v_mov_b32_e32 v1, v2
	;; [unrolled: 1-line block ×3, first 2 shown]
	s_load_dwordx16 s[8:23], s[4:5], 0x0
	s_waitcnt lgkmcnt(0)
	s_and_b32 s0, s0, 0xffff
	v_mad_u64_u32 v[0:1], s[0:1], s0, v3, v[0:1]
	v_lshlrev_b64 v[8:9], 5, v[0:1]
	v_cmp_gt_i64_e32 vcc, s[12:13], v[8:9]
	s_and_saveexec_b64 s[0:1], vcc
	s_cbranch_execz .LBB8_28
; %bb.1:
	s_mul_i32 s0, s16, s15
	s_mul_hi_u32 s1, s16, s14
	s_add_i32 s0, s1, s0
	s_mul_i32 s1, s17, s14
	s_mul_i32 s16, s16, s14
	s_add_i32 s17, s0, s1
	s_mul_i32 s0, s16, s19
	s_mul_hi_u32 s1, s16, s18
	s_add_i32 s0, s1, s0
	s_mul_i32 s1, s17, s18
	s_add_i32 s19, s0, s1
	v_or_b32_e32 v3, s19, v9
	v_cmp_ne_u64_e32 vcc, 0, v[2:3]
	s_mul_i32 s18, s16, s18
	v_ashrrev_i32_e32 v10, 31, v9
                                        ; implicit-def: $vgpr0_vgpr1
	s_and_saveexec_b64 s[0:1], vcc
	s_xor_b64 s[2:3], exec, s[0:1]
	s_cbranch_execz .LBB8_3
; %bb.2:
	s_ashr_i32 s6, s19, 31
	s_add_u32 s0, s18, s6
	s_mov_b32 s7, s6
	s_addc_u32 s1, s19, s6
	s_xor_b64 s[12:13], s[0:1], s[6:7]
	v_cvt_f32_u32_e32 v0, s12
	v_cvt_f32_u32_e32 v1, s13
	s_sub_u32 s7, 0, s12
	s_subb_u32 s24, 0, s13
	v_madmk_f32 v0, v1, 0x4f800000, v0
	v_rcp_f32_e32 v0, v0
	v_mul_f32_e32 v0, 0x5f7ffffc, v0
	v_mul_f32_e32 v1, 0x2f800000, v0
	v_trunc_f32_e32 v1, v1
	v_madmk_f32 v0, v1, 0xcf800000, v0
	v_cvt_u32_f32_e32 v1, v1
	v_cvt_u32_f32_e32 v0, v0
	v_readfirstlane_b32 s25, v1
	v_readfirstlane_b32 s0, v0
	s_mul_i32 s1, s7, s25
	s_mul_hi_u32 s27, s7, s0
	s_mul_i32 s26, s24, s0
	s_add_i32 s1, s27, s1
	s_add_i32 s1, s1, s26
	s_mul_i32 s28, s7, s0
	s_mul_i32 s27, s0, s1
	s_mul_hi_u32 s29, s0, s28
	s_mul_hi_u32 s26, s0, s1
	s_add_u32 s27, s29, s27
	s_addc_u32 s26, 0, s26
	s_mul_hi_u32 s30, s25, s28
	s_mul_i32 s28, s25, s28
	s_add_u32 s27, s27, s28
	s_mul_hi_u32 s29, s25, s1
	s_addc_u32 s26, s26, s30
	s_addc_u32 s27, s29, 0
	s_mul_i32 s1, s25, s1
	s_add_u32 s1, s26, s1
	s_addc_u32 s26, 0, s27
	s_add_u32 s27, s0, s1
	s_cselect_b64 s[0:1], -1, 0
	s_cmp_lg_u64 s[0:1], 0
	s_addc_u32 s25, s25, s26
	s_mul_i32 s0, s7, s25
	s_mul_hi_u32 s1, s7, s27
	s_add_i32 s0, s1, s0
	s_mul_i32 s24, s24, s27
	s_add_i32 s0, s0, s24
	s_mul_i32 s7, s7, s27
	s_mul_hi_u32 s24, s25, s7
	s_mul_i32 s26, s25, s7
	s_mul_i32 s29, s27, s0
	s_mul_hi_u32 s7, s27, s7
	s_mul_hi_u32 s28, s27, s0
	s_add_u32 s7, s7, s29
	s_addc_u32 s28, 0, s28
	s_add_u32 s7, s7, s26
	s_mul_hi_u32 s1, s25, s0
	s_addc_u32 s7, s28, s24
	s_addc_u32 s1, s1, 0
	s_mul_i32 s0, s25, s0
	s_add_u32 s0, s7, s0
	s_addc_u32 s7, 0, s1
	s_add_u32 s24, s27, s0
	s_cselect_b64 s[0:1], -1, 0
	s_cmp_lg_u64 s[0:1], 0
	v_add_co_u32_e32 v0, vcc, v8, v10
	s_addc_u32 s7, s25, s7
	v_xor_b32_e32 v4, v0, v10
	v_mad_u64_u32 v[0:1], s[0:1], v4, s7, 0
	v_mul_hi_u32 v3, v4, s24
	v_addc_co_u32_e32 v2, vcc, v9, v10, vcc
	v_xor_b32_e32 v5, v2, v10
	v_add_co_u32_e32 v6, vcc, v3, v0
	v_addc_co_u32_e32 v7, vcc, 0, v1, vcc
	v_mad_u64_u32 v[0:1], s[0:1], v5, s24, 0
	v_mad_u64_u32 v[2:3], s[0:1], v5, s7, 0
	v_add_co_u32_e32 v0, vcc, v6, v0
	v_addc_co_u32_e32 v0, vcc, v7, v1, vcc
	v_addc_co_u32_e32 v1, vcc, 0, v3, vcc
	v_add_co_u32_e32 v2, vcc, v0, v2
	v_addc_co_u32_e32 v3, vcc, 0, v1, vcc
	v_mul_lo_u32 v6, s13, v2
	v_mul_lo_u32 v7, s12, v3
	v_mad_u64_u32 v[0:1], s[0:1], s12, v2, 0
	v_add3_u32 v1, v1, v7, v6
	v_sub_u32_e32 v6, v5, v1
	v_mov_b32_e32 v7, s13
	v_sub_co_u32_e32 v0, vcc, v4, v0
	v_subb_co_u32_e64 v4, s[0:1], v6, v7, vcc
	v_subrev_co_u32_e64 v6, s[0:1], s12, v0
	v_subbrev_co_u32_e64 v4, s[0:1], 0, v4, s[0:1]
	v_cmp_le_u32_e64 s[0:1], s13, v4
	v_cndmask_b32_e64 v7, 0, -1, s[0:1]
	v_cmp_le_u32_e64 s[0:1], s12, v6
	v_cndmask_b32_e64 v6, 0, -1, s[0:1]
	v_cmp_eq_u32_e64 s[0:1], s13, v4
	v_cndmask_b32_e64 v4, v7, v6, s[0:1]
	v_add_co_u32_e64 v6, s[0:1], 2, v2
	v_subb_co_u32_e32 v1, vcc, v5, v1, vcc
	v_addc_co_u32_e64 v7, s[0:1], 0, v3, s[0:1]
	v_cmp_le_u32_e32 vcc, s13, v1
	v_add_co_u32_e64 v11, s[0:1], 1, v2
	v_cndmask_b32_e64 v5, 0, -1, vcc
	v_cmp_le_u32_e32 vcc, s12, v0
	v_addc_co_u32_e64 v12, s[0:1], 0, v3, s[0:1]
	v_cndmask_b32_e64 v0, 0, -1, vcc
	v_cmp_eq_u32_e32 vcc, s13, v1
	v_cmp_ne_u32_e64 s[0:1], 0, v4
	v_cndmask_b32_e32 v0, v5, v0, vcc
	v_cndmask_b32_e64 v4, v12, v7, s[0:1]
	v_cmp_ne_u32_e32 vcc, 0, v0
	v_cndmask_b32_e64 v1, v11, v6, s[0:1]
	v_cndmask_b32_e32 v0, v3, v4, vcc
	v_cndmask_b32_e32 v1, v2, v1, vcc
	v_xor_b32_e32 v2, s6, v10
	v_xor_b32_e32 v3, v0, v2
	;; [unrolled: 1-line block ×3, first 2 shown]
	v_sub_co_u32_e32 v0, vcc, v0, v2
	v_subb_co_u32_e32 v1, vcc, v3, v2, vcc
.LBB8_3:
	s_andn2_saveexec_b64 s[0:1], s[2:3]
	s_cbranch_execz .LBB8_5
; %bb.4:
	v_cvt_f32_u32_e32 v0, s18
	s_sub_i32 s2, 0, s18
	v_rcp_iflag_f32_e32 v0, v0
	v_mul_f32_e32 v0, 0x4f7ffffe, v0
	v_cvt_u32_f32_e32 v0, v0
	v_mul_lo_u32 v1, s2, v0
	v_mul_hi_u32 v1, v0, v1
	v_add_u32_e32 v0, v0, v1
	v_mul_hi_u32 v0, v8, v0
	v_mul_lo_u32 v1, v0, s18
	v_add_u32_e32 v2, 1, v0
	v_sub_u32_e32 v1, v8, v1
	v_subrev_u32_e32 v3, s18, v1
	v_cmp_le_u32_e32 vcc, s18, v1
	v_cndmask_b32_e32 v1, v1, v3, vcc
	v_cndmask_b32_e32 v0, v0, v2, vcc
	v_add_u32_e32 v2, 1, v0
	v_cmp_le_u32_e32 vcc, s18, v1
	v_cndmask_b32_e32 v0, v0, v2, vcc
	v_mov_b32_e32 v1, 0
.LBB8_5:
	s_or_b64 exec, exec, s[0:1]
	v_mul_lo_u32 v4, s19, v0
	v_mul_lo_u32 v5, s18, v1
	v_mad_u64_u32 v[2:3], s[0:1], s18, v0, 0
                                        ; implicit-def: $vgpr6_vgpr7
	v_add3_u32 v3, v3, v5, v4
	v_sub_co_u32_e32 v2, vcc, v8, v2
	v_subb_co_u32_e32 v3, vcc, v9, v3, vcc
	v_or_b32_e32 v5, s17, v3
	v_mov_b32_e32 v4, 0
	v_cmp_ne_u64_e32 vcc, 0, v[4:5]
	s_and_saveexec_b64 s[0:1], vcc
	s_xor_b64 s[2:3], exec, s[0:1]
	s_cbranch_execz .LBB8_7
; %bb.6:
	s_ashr_i32 s6, s17, 31
	s_add_u32 s0, s16, s6
	s_mov_b32 s7, s6
	s_addc_u32 s1, s17, s6
	s_xor_b64 s[12:13], s[0:1], s[6:7]
	v_cvt_f32_u32_e32 v4, s12
	v_cvt_f32_u32_e32 v5, s13
	s_sub_u32 s7, 0, s12
	s_subb_u32 s18, 0, s13
	v_ashrrev_i32_e32 v11, 31, v3
	v_madmk_f32 v4, v5, 0x4f800000, v4
	v_rcp_f32_e32 v4, v4
	v_mul_f32_e32 v4, 0x5f7ffffc, v4
	v_mul_f32_e32 v5, 0x2f800000, v4
	v_trunc_f32_e32 v5, v5
	v_madmk_f32 v4, v5, 0xcf800000, v4
	v_cvt_u32_f32_e32 v5, v5
	v_cvt_u32_f32_e32 v4, v4
	v_readfirstlane_b32 s19, v5
	v_readfirstlane_b32 s0, v4
	s_mul_i32 s1, s7, s19
	s_mul_hi_u32 s25, s7, s0
	s_mul_i32 s24, s18, s0
	s_add_i32 s1, s25, s1
	s_add_i32 s1, s1, s24
	s_mul_i32 s26, s7, s0
	s_mul_i32 s25, s0, s1
	s_mul_hi_u32 s27, s0, s26
	s_mul_hi_u32 s24, s0, s1
	s_add_u32 s25, s27, s25
	s_addc_u32 s24, 0, s24
	s_mul_hi_u32 s28, s19, s26
	s_mul_i32 s26, s19, s26
	s_add_u32 s25, s25, s26
	s_mul_hi_u32 s27, s19, s1
	s_addc_u32 s24, s24, s28
	s_addc_u32 s25, s27, 0
	s_mul_i32 s1, s19, s1
	s_add_u32 s1, s24, s1
	s_addc_u32 s24, 0, s25
	s_add_u32 s25, s0, s1
	s_cselect_b64 s[0:1], -1, 0
	s_cmp_lg_u64 s[0:1], 0
	s_addc_u32 s19, s19, s24
	s_mul_i32 s0, s7, s19
	s_mul_hi_u32 s1, s7, s25
	s_add_i32 s0, s1, s0
	s_mul_i32 s18, s18, s25
	s_add_i32 s0, s0, s18
	s_mul_i32 s7, s7, s25
	s_mul_hi_u32 s18, s19, s7
	s_mul_i32 s24, s19, s7
	s_mul_i32 s27, s25, s0
	s_mul_hi_u32 s7, s25, s7
	s_mul_hi_u32 s26, s25, s0
	s_add_u32 s7, s7, s27
	s_addc_u32 s26, 0, s26
	s_add_u32 s7, s7, s24
	s_mul_hi_u32 s1, s19, s0
	s_addc_u32 s7, s26, s18
	s_addc_u32 s1, s1, 0
	s_mul_i32 s0, s19, s0
	s_add_u32 s0, s7, s0
	s_addc_u32 s7, 0, s1
	s_add_u32 s18, s25, s0
	s_cselect_b64 s[0:1], -1, 0
	s_cmp_lg_u64 s[0:1], 0
	v_add_co_u32_e32 v4, vcc, v2, v11
	s_addc_u32 s7, s19, s7
	v_xor_b32_e32 v12, v4, v11
	v_mad_u64_u32 v[4:5], s[0:1], v12, s7, 0
	v_mul_hi_u32 v7, v12, s18
	v_addc_co_u32_e32 v6, vcc, v3, v11, vcc
	v_xor_b32_e32 v13, v6, v11
	v_add_co_u32_e32 v14, vcc, v7, v4
	v_addc_co_u32_e32 v15, vcc, 0, v5, vcc
	v_mad_u64_u32 v[4:5], s[0:1], v13, s18, 0
	v_mad_u64_u32 v[6:7], s[0:1], v13, s7, 0
	v_add_co_u32_e32 v4, vcc, v14, v4
	v_addc_co_u32_e32 v4, vcc, v15, v5, vcc
	v_addc_co_u32_e32 v5, vcc, 0, v7, vcc
	v_add_co_u32_e32 v6, vcc, v4, v6
	v_addc_co_u32_e32 v7, vcc, 0, v5, vcc
	v_mul_lo_u32 v14, s13, v6
	v_mul_lo_u32 v15, s12, v7
	v_mad_u64_u32 v[4:5], s[0:1], s12, v6, 0
	v_add3_u32 v5, v5, v15, v14
	v_sub_u32_e32 v14, v13, v5
	v_mov_b32_e32 v15, s13
	v_sub_co_u32_e32 v4, vcc, v12, v4
	v_subb_co_u32_e64 v12, s[0:1], v14, v15, vcc
	v_subrev_co_u32_e64 v14, s[0:1], s12, v4
	v_subbrev_co_u32_e64 v12, s[0:1], 0, v12, s[0:1]
	v_cmp_le_u32_e64 s[0:1], s13, v12
	v_cndmask_b32_e64 v15, 0, -1, s[0:1]
	v_cmp_le_u32_e64 s[0:1], s12, v14
	v_cndmask_b32_e64 v14, 0, -1, s[0:1]
	v_cmp_eq_u32_e64 s[0:1], s13, v12
	v_cndmask_b32_e64 v12, v15, v14, s[0:1]
	v_add_co_u32_e64 v14, s[0:1], 2, v6
	v_subb_co_u32_e32 v5, vcc, v13, v5, vcc
	v_addc_co_u32_e64 v15, s[0:1], 0, v7, s[0:1]
	v_cmp_le_u32_e32 vcc, s13, v5
	v_add_co_u32_e64 v16, s[0:1], 1, v6
	v_cndmask_b32_e64 v13, 0, -1, vcc
	v_cmp_le_u32_e32 vcc, s12, v4
	v_addc_co_u32_e64 v17, s[0:1], 0, v7, s[0:1]
	v_cndmask_b32_e64 v4, 0, -1, vcc
	v_cmp_eq_u32_e32 vcc, s13, v5
	v_cmp_ne_u32_e64 s[0:1], 0, v12
	v_cndmask_b32_e32 v4, v13, v4, vcc
	v_cndmask_b32_e64 v12, v17, v15, s[0:1]
	v_cmp_ne_u32_e32 vcc, 0, v4
	v_cndmask_b32_e64 v5, v16, v14, s[0:1]
	v_cndmask_b32_e32 v4, v7, v12, vcc
	v_cndmask_b32_e32 v5, v6, v5, vcc
	v_xor_b32_e32 v7, s6, v11
	v_xor_b32_e32 v5, v5, v7
	;; [unrolled: 1-line block ×3, first 2 shown]
	v_sub_co_u32_e32 v6, vcc, v5, v7
	v_subb_co_u32_e32 v7, vcc, v4, v7, vcc
.LBB8_7:
	s_andn2_saveexec_b64 s[0:1], s[2:3]
	s_cbranch_execz .LBB8_9
; %bb.8:
	v_cvt_f32_u32_e32 v4, s16
	s_sub_i32 s2, 0, s16
	v_rcp_iflag_f32_e32 v4, v4
	v_mul_f32_e32 v4, 0x4f7ffffe, v4
	v_cvt_u32_f32_e32 v4, v4
	v_mul_lo_u32 v5, s2, v4
	v_mul_hi_u32 v5, v4, v5
	v_add_u32_e32 v4, v4, v5
	v_mul_hi_u32 v4, v2, v4
	v_mul_lo_u32 v5, v4, s16
	v_add_u32_e32 v6, 1, v4
	v_sub_u32_e32 v5, v2, v5
	v_subrev_u32_e32 v7, s16, v5
	v_cmp_le_u32_e32 vcc, s16, v5
	v_cndmask_b32_e32 v5, v5, v7, vcc
	v_cndmask_b32_e32 v4, v4, v6, vcc
	v_add_u32_e32 v6, 1, v4
	v_cmp_le_u32_e32 vcc, s16, v5
	v_cndmask_b32_e32 v6, v4, v6, vcc
	v_mov_b32_e32 v7, 0
.LBB8_9:
	s_or_b64 exec, exec, s[0:1]
	v_mul_lo_u32 v11, s17, v6
	v_mul_lo_u32 v12, s16, v7
	v_mad_u64_u32 v[4:5], s[0:1], s16, v6, 0
	v_add3_u32 v5, v5, v12, v11
	v_sub_co_u32_e32 v12, vcc, v2, v4
	v_subb_co_u32_e32 v14, vcc, v3, v5, vcc
	v_or_b32_e32 v3, s15, v14
	v_mov_b32_e32 v2, 0
	v_cmp_ne_u64_e32 vcc, 0, v[2:3]
                                        ; implicit-def: $vgpr2_vgpr3
	s_and_saveexec_b64 s[0:1], vcc
	s_xor_b64 s[2:3], exec, s[0:1]
	s_cbranch_execz .LBB8_11
; %bb.10:
	s_ashr_i32 s6, s15, 31
	s_add_u32 s0, s14, s6
	s_mov_b32 s7, s6
	s_addc_u32 s1, s15, s6
	s_xor_b64 s[12:13], s[0:1], s[6:7]
	v_cvt_f32_u32_e32 v2, s12
	v_cvt_f32_u32_e32 v3, s13
	s_sub_u32 s7, 0, s12
	s_subb_u32 s16, 0, s13
	v_ashrrev_i32_e32 v11, 31, v14
	v_madmk_f32 v2, v3, 0x4f800000, v2
	v_rcp_f32_e32 v2, v2
	v_mul_f32_e32 v2, 0x5f7ffffc, v2
	v_mul_f32_e32 v3, 0x2f800000, v2
	v_trunc_f32_e32 v3, v3
	v_madmk_f32 v2, v3, 0xcf800000, v2
	v_cvt_u32_f32_e32 v3, v3
	v_cvt_u32_f32_e32 v2, v2
	v_readfirstlane_b32 s17, v3
	v_readfirstlane_b32 s0, v2
	s_mul_i32 s1, s7, s17
	s_mul_hi_u32 s19, s7, s0
	s_mul_i32 s18, s16, s0
	s_add_i32 s1, s19, s1
	s_add_i32 s1, s1, s18
	s_mul_i32 s24, s7, s0
	s_mul_i32 s19, s0, s1
	s_mul_hi_u32 s25, s0, s24
	s_mul_hi_u32 s18, s0, s1
	s_add_u32 s19, s25, s19
	s_addc_u32 s18, 0, s18
	s_mul_hi_u32 s26, s17, s24
	s_mul_i32 s24, s17, s24
	s_add_u32 s19, s19, s24
	s_mul_hi_u32 s25, s17, s1
	s_addc_u32 s18, s18, s26
	s_addc_u32 s19, s25, 0
	s_mul_i32 s1, s17, s1
	s_add_u32 s1, s18, s1
	s_addc_u32 s18, 0, s19
	s_add_u32 s19, s0, s1
	s_cselect_b64 s[0:1], -1, 0
	s_cmp_lg_u64 s[0:1], 0
	s_addc_u32 s17, s17, s18
	s_mul_i32 s0, s7, s17
	s_mul_hi_u32 s1, s7, s19
	s_add_i32 s0, s1, s0
	s_mul_i32 s16, s16, s19
	s_add_i32 s0, s0, s16
	s_mul_i32 s7, s7, s19
	s_mul_hi_u32 s16, s17, s7
	s_mul_i32 s18, s17, s7
	s_mul_i32 s25, s19, s0
	s_mul_hi_u32 s7, s19, s7
	s_mul_hi_u32 s24, s19, s0
	s_add_u32 s7, s7, s25
	s_addc_u32 s24, 0, s24
	s_add_u32 s7, s7, s18
	s_mul_hi_u32 s1, s17, s0
	s_addc_u32 s7, s24, s16
	s_addc_u32 s1, s1, 0
	s_mul_i32 s0, s17, s0
	s_add_u32 s0, s7, s0
	s_addc_u32 s7, 0, s1
	s_add_u32 s16, s19, s0
	s_cselect_b64 s[0:1], -1, 0
	s_cmp_lg_u64 s[0:1], 0
	v_add_co_u32_e32 v2, vcc, v12, v11
	s_addc_u32 s7, s17, s7
	v_xor_b32_e32 v13, v2, v11
	v_mad_u64_u32 v[2:3], s[0:1], v13, s7, 0
	v_mul_hi_u32 v5, v13, s16
	v_addc_co_u32_e32 v4, vcc, v14, v11, vcc
	v_xor_b32_e32 v15, v4, v11
	v_add_co_u32_e32 v16, vcc, v5, v2
	v_addc_co_u32_e32 v17, vcc, 0, v3, vcc
	v_mad_u64_u32 v[2:3], s[0:1], v15, s16, 0
	v_mad_u64_u32 v[4:5], s[0:1], v15, s7, 0
	v_add_co_u32_e32 v2, vcc, v16, v2
	v_addc_co_u32_e32 v2, vcc, v17, v3, vcc
	v_addc_co_u32_e32 v3, vcc, 0, v5, vcc
	v_add_co_u32_e32 v4, vcc, v2, v4
	v_addc_co_u32_e32 v5, vcc, 0, v3, vcc
	v_mul_lo_u32 v16, s13, v4
	v_mul_lo_u32 v17, s12, v5
	v_mad_u64_u32 v[2:3], s[0:1], s12, v4, 0
	v_add3_u32 v3, v3, v17, v16
	v_sub_u32_e32 v16, v15, v3
	v_mov_b32_e32 v17, s13
	v_sub_co_u32_e32 v2, vcc, v13, v2
	v_subb_co_u32_e64 v13, s[0:1], v16, v17, vcc
	v_subrev_co_u32_e64 v16, s[0:1], s12, v2
	v_subbrev_co_u32_e64 v13, s[0:1], 0, v13, s[0:1]
	v_cmp_le_u32_e64 s[0:1], s13, v13
	v_cndmask_b32_e64 v17, 0, -1, s[0:1]
	v_cmp_le_u32_e64 s[0:1], s12, v16
	v_cndmask_b32_e64 v16, 0, -1, s[0:1]
	v_cmp_eq_u32_e64 s[0:1], s13, v13
	v_cndmask_b32_e64 v13, v17, v16, s[0:1]
	v_add_co_u32_e64 v16, s[0:1], 2, v4
	v_subb_co_u32_e32 v3, vcc, v15, v3, vcc
	v_addc_co_u32_e64 v17, s[0:1], 0, v5, s[0:1]
	v_cmp_le_u32_e32 vcc, s13, v3
	v_add_co_u32_e64 v18, s[0:1], 1, v4
	v_cndmask_b32_e64 v15, 0, -1, vcc
	v_cmp_le_u32_e32 vcc, s12, v2
	v_addc_co_u32_e64 v19, s[0:1], 0, v5, s[0:1]
	v_cndmask_b32_e64 v2, 0, -1, vcc
	v_cmp_eq_u32_e32 vcc, s13, v3
	v_cmp_ne_u32_e64 s[0:1], 0, v13
	v_cndmask_b32_e32 v2, v15, v2, vcc
	v_cndmask_b32_e64 v13, v19, v17, s[0:1]
	v_cmp_ne_u32_e32 vcc, 0, v2
	v_cndmask_b32_e64 v3, v18, v16, s[0:1]
	v_cndmask_b32_e32 v2, v5, v13, vcc
	v_cndmask_b32_e32 v3, v4, v3, vcc
	v_xor_b32_e32 v4, s6, v11
	v_xor_b32_e32 v5, v2, v4
	;; [unrolled: 1-line block ×3, first 2 shown]
	v_sub_co_u32_e32 v2, vcc, v2, v4
	v_subb_co_u32_e32 v3, vcc, v5, v4, vcc
.LBB8_11:
	s_andn2_saveexec_b64 s[0:1], s[2:3]
	s_cbranch_execz .LBB8_13
; %bb.12:
	v_cvt_f32_u32_e32 v2, s14
	s_sub_i32 s2, 0, s14
	v_rcp_iflag_f32_e32 v2, v2
	v_mul_f32_e32 v2, 0x4f7ffffe, v2
	v_cvt_u32_f32_e32 v2, v2
	v_mul_lo_u32 v3, s2, v2
	v_mul_hi_u32 v3, v2, v3
	v_add_u32_e32 v2, v2, v3
	v_mul_hi_u32 v2, v12, v2
	v_mul_lo_u32 v3, v2, s14
	v_add_u32_e32 v4, 1, v2
	v_sub_u32_e32 v3, v12, v3
	v_subrev_u32_e32 v5, s14, v3
	v_cmp_le_u32_e32 vcc, s14, v3
	v_cndmask_b32_e32 v3, v3, v5, vcc
	v_cndmask_b32_e32 v2, v2, v4, vcc
	v_add_u32_e32 v4, 1, v2
	v_cmp_le_u32_e32 vcc, s14, v3
	v_cndmask_b32_e32 v2, v2, v4, vcc
	v_mov_b32_e32 v3, 0
.LBB8_13:
	s_or_b64 exec, exec, s[0:1]
	s_load_dwordx16 s[36:51], s[4:5], 0x40
	v_mov_b32_e32 v4, 0
	s_waitcnt lgkmcnt(0)
	s_mul_i32 s0, s42, s41
	s_mul_hi_u32 s1, s42, s40
	s_mul_i32 s2, s43, s40
	s_mul_i32 s16, s42, s40
	s_add_i32 s17, s1, s0
	s_mul_i32 s0, s16, s45
	s_add_i32 s17, s17, s2
	s_mul_hi_u32 s1, s16, s44
	s_add_i32 s0, s1, s0
	s_mul_i32 s1, s17, s44
	s_add_i32 s18, s0, s1
	v_or_b32_e32 v5, s18, v9
	v_cmp_ne_u64_e32 vcc, 0, v[4:5]
	s_mul_i32 s19, s16, s44
                                        ; implicit-def: $vgpr4_vgpr5
	s_and_saveexec_b64 s[0:1], vcc
	s_xor_b64 s[2:3], exec, s[0:1]
	s_cbranch_execz .LBB8_15
; %bb.14:
	s_ashr_i32 s6, s18, 31
	s_add_u32 s0, s19, s6
	s_mov_b32 s7, s6
	s_addc_u32 s1, s18, s6
	s_xor_b64 s[12:13], s[0:1], s[6:7]
	v_cvt_f32_u32_e32 v4, s12
	v_cvt_f32_u32_e32 v5, s13
	s_sub_u32 s7, 0, s12
	s_subb_u32 s24, 0, s13
	v_madmk_f32 v4, v5, 0x4f800000, v4
	v_rcp_f32_e32 v4, v4
	v_mul_f32_e32 v4, 0x5f7ffffc, v4
	v_mul_f32_e32 v5, 0x2f800000, v4
	v_trunc_f32_e32 v5, v5
	v_madmk_f32 v4, v5, 0xcf800000, v4
	v_cvt_u32_f32_e32 v5, v5
	v_cvt_u32_f32_e32 v4, v4
	v_readfirstlane_b32 s25, v5
	v_readfirstlane_b32 s0, v4
	s_mul_i32 s1, s7, s25
	s_mul_hi_u32 s27, s7, s0
	s_mul_i32 s26, s24, s0
	s_add_i32 s1, s27, s1
	s_add_i32 s1, s1, s26
	s_mul_i32 s28, s7, s0
	s_mul_i32 s27, s0, s1
	s_mul_hi_u32 s29, s0, s28
	s_mul_hi_u32 s26, s0, s1
	s_add_u32 s27, s29, s27
	s_addc_u32 s26, 0, s26
	s_mul_hi_u32 s30, s25, s28
	s_mul_i32 s28, s25, s28
	s_add_u32 s27, s27, s28
	s_mul_hi_u32 s29, s25, s1
	s_addc_u32 s26, s26, s30
	s_addc_u32 s27, s29, 0
	s_mul_i32 s1, s25, s1
	s_add_u32 s1, s26, s1
	s_addc_u32 s26, 0, s27
	s_add_u32 s27, s0, s1
	s_cselect_b64 s[0:1], -1, 0
	s_cmp_lg_u64 s[0:1], 0
	s_addc_u32 s25, s25, s26
	s_mul_i32 s0, s7, s25
	s_mul_hi_u32 s1, s7, s27
	s_add_i32 s0, s1, s0
	s_mul_i32 s24, s24, s27
	s_add_i32 s0, s0, s24
	s_mul_i32 s7, s7, s27
	s_mul_hi_u32 s24, s25, s7
	s_mul_i32 s26, s25, s7
	s_mul_i32 s29, s27, s0
	s_mul_hi_u32 s7, s27, s7
	s_mul_hi_u32 s28, s27, s0
	s_add_u32 s7, s7, s29
	s_addc_u32 s28, 0, s28
	s_add_u32 s7, s7, s26
	s_mul_hi_u32 s1, s25, s0
	s_addc_u32 s7, s28, s24
	s_addc_u32 s1, s1, 0
	s_mul_i32 s0, s25, s0
	s_add_u32 s0, s7, s0
	s_addc_u32 s7, 0, s1
	s_add_u32 s24, s27, s0
	s_cselect_b64 s[0:1], -1, 0
	s_cmp_lg_u64 s[0:1], 0
	v_add_co_u32_e32 v4, vcc, v8, v10
	s_addc_u32 s7, s25, s7
	v_xor_b32_e32 v13, v4, v10
	v_mad_u64_u32 v[4:5], s[0:1], v13, s7, 0
	v_mul_hi_u32 v15, v13, s24
	v_addc_co_u32_e32 v11, vcc, v9, v10, vcc
	v_xor_b32_e32 v11, v11, v10
	v_add_co_u32_e32 v17, vcc, v15, v4
	v_addc_co_u32_e32 v18, vcc, 0, v5, vcc
	v_mad_u64_u32 v[4:5], s[0:1], v11, s24, 0
	v_mad_u64_u32 v[15:16], s[0:1], v11, s7, 0
	v_add_co_u32_e32 v4, vcc, v17, v4
	v_addc_co_u32_e32 v4, vcc, v18, v5, vcc
	v_addc_co_u32_e32 v5, vcc, 0, v16, vcc
	v_add_co_u32_e32 v15, vcc, v4, v15
	v_addc_co_u32_e32 v16, vcc, 0, v5, vcc
	v_mul_lo_u32 v17, s13, v15
	v_mul_lo_u32 v18, s12, v16
	v_mad_u64_u32 v[4:5], s[0:1], s12, v15, 0
	v_xor_b32_e32 v10, s6, v10
	v_add3_u32 v5, v5, v18, v17
	v_sub_u32_e32 v17, v11, v5
	v_mov_b32_e32 v18, s13
	v_sub_co_u32_e32 v4, vcc, v13, v4
	v_subb_co_u32_e64 v13, s[0:1], v17, v18, vcc
	v_subrev_co_u32_e64 v17, s[0:1], s12, v4
	v_subbrev_co_u32_e64 v13, s[0:1], 0, v13, s[0:1]
	v_cmp_le_u32_e64 s[0:1], s13, v13
	v_cndmask_b32_e64 v18, 0, -1, s[0:1]
	v_cmp_le_u32_e64 s[0:1], s12, v17
	v_cndmask_b32_e64 v17, 0, -1, s[0:1]
	v_cmp_eq_u32_e64 s[0:1], s13, v13
	v_cndmask_b32_e64 v13, v18, v17, s[0:1]
	v_add_co_u32_e64 v17, s[0:1], 2, v15
	v_subb_co_u32_e32 v5, vcc, v11, v5, vcc
	v_addc_co_u32_e64 v18, s[0:1], 0, v16, s[0:1]
	v_cmp_le_u32_e32 vcc, s13, v5
	v_add_co_u32_e64 v19, s[0:1], 1, v15
	v_cndmask_b32_e64 v11, 0, -1, vcc
	v_cmp_le_u32_e32 vcc, s12, v4
	v_addc_co_u32_e64 v20, s[0:1], 0, v16, s[0:1]
	v_cndmask_b32_e64 v4, 0, -1, vcc
	v_cmp_eq_u32_e32 vcc, s13, v5
	v_cmp_ne_u32_e64 s[0:1], 0, v13
	v_cndmask_b32_e32 v4, v11, v4, vcc
	v_cndmask_b32_e64 v13, v20, v18, s[0:1]
	v_cmp_ne_u32_e32 vcc, 0, v4
	v_cndmask_b32_e64 v5, v19, v17, s[0:1]
	v_cndmask_b32_e32 v4, v16, v13, vcc
	v_cndmask_b32_e32 v5, v15, v5, vcc
	v_xor_b32_e32 v11, v4, v10
	v_xor_b32_e32 v4, v5, v10
	v_sub_co_u32_e32 v4, vcc, v4, v10
	v_subb_co_u32_e32 v5, vcc, v11, v10, vcc
.LBB8_15:
	s_andn2_saveexec_b64 s[0:1], s[2:3]
	s_cbranch_execz .LBB8_17
; %bb.16:
	v_cvt_f32_u32_e32 v4, s19
	s_sub_i32 s2, 0, s19
	v_rcp_iflag_f32_e32 v4, v4
	v_mul_f32_e32 v4, 0x4f7ffffe, v4
	v_cvt_u32_f32_e32 v4, v4
	v_mul_lo_u32 v5, s2, v4
	v_mul_hi_u32 v5, v4, v5
	v_add_u32_e32 v4, v4, v5
	v_mul_hi_u32 v4, v8, v4
	v_mul_lo_u32 v5, v4, s19
	v_add_u32_e32 v10, 1, v4
	v_sub_u32_e32 v5, v8, v5
	v_subrev_u32_e32 v11, s19, v5
	v_cmp_le_u32_e32 vcc, s19, v5
	v_cndmask_b32_e32 v5, v5, v11, vcc
	v_cndmask_b32_e32 v4, v4, v10, vcc
	v_add_u32_e32 v10, 1, v4
	v_cmp_le_u32_e32 vcc, s19, v5
	v_cndmask_b32_e32 v4, v4, v10, vcc
	v_mov_b32_e32 v5, 0
.LBB8_17:
	s_or_b64 exec, exec, s[0:1]
	v_mul_lo_u32 v13, s18, v4
	v_mul_lo_u32 v15, s19, v5
	v_mad_u64_u32 v[10:11], s[0:1], s19, v4, 0
	v_add3_u32 v11, v11, v15, v13
	v_sub_co_u32_e32 v10, vcc, v8, v10
	v_subb_co_u32_e32 v11, vcc, v9, v11, vcc
	v_or_b32_e32 v9, s17, v11
	v_mov_b32_e32 v8, 0
	v_cmp_ne_u64_e32 vcc, 0, v[8:9]
                                        ; implicit-def: $vgpr8_vgpr9
	s_and_saveexec_b64 s[0:1], vcc
	s_xor_b64 s[2:3], exec, s[0:1]
	s_cbranch_execz .LBB8_19
; %bb.18:
	s_ashr_i32 s6, s17, 31
	s_add_u32 s0, s16, s6
	s_mov_b32 s7, s6
	s_addc_u32 s1, s17, s6
	s_xor_b64 s[12:13], s[0:1], s[6:7]
	v_cvt_f32_u32_e32 v8, s12
	v_cvt_f32_u32_e32 v9, s13
	s_sub_u32 s7, 0, s12
	s_subb_u32 s18, 0, s13
	v_ashrrev_i32_e32 v13, 31, v11
	v_madmk_f32 v8, v9, 0x4f800000, v8
	v_rcp_f32_e32 v8, v8
	v_mul_f32_e32 v8, 0x5f7ffffc, v8
	v_mul_f32_e32 v9, 0x2f800000, v8
	v_trunc_f32_e32 v9, v9
	v_madmk_f32 v8, v9, 0xcf800000, v8
	v_cvt_u32_f32_e32 v9, v9
	v_cvt_u32_f32_e32 v8, v8
	v_readfirstlane_b32 s19, v9
	v_readfirstlane_b32 s0, v8
	s_mul_i32 s1, s7, s19
	s_mul_hi_u32 s25, s7, s0
	s_mul_i32 s24, s18, s0
	s_add_i32 s1, s25, s1
	s_add_i32 s1, s1, s24
	s_mul_i32 s26, s7, s0
	s_mul_i32 s25, s0, s1
	s_mul_hi_u32 s27, s0, s26
	s_mul_hi_u32 s24, s0, s1
	s_add_u32 s25, s27, s25
	s_addc_u32 s24, 0, s24
	s_mul_hi_u32 s28, s19, s26
	s_mul_i32 s26, s19, s26
	s_add_u32 s25, s25, s26
	s_mul_hi_u32 s27, s19, s1
	s_addc_u32 s24, s24, s28
	s_addc_u32 s25, s27, 0
	s_mul_i32 s1, s19, s1
	s_add_u32 s1, s24, s1
	s_addc_u32 s24, 0, s25
	s_add_u32 s25, s0, s1
	s_cselect_b64 s[0:1], -1, 0
	s_cmp_lg_u64 s[0:1], 0
	s_addc_u32 s19, s19, s24
	s_mul_i32 s0, s7, s19
	s_mul_hi_u32 s1, s7, s25
	s_add_i32 s0, s1, s0
	s_mul_i32 s18, s18, s25
	s_add_i32 s0, s0, s18
	s_mul_i32 s7, s7, s25
	s_mul_hi_u32 s18, s19, s7
	s_mul_i32 s24, s19, s7
	s_mul_i32 s27, s25, s0
	s_mul_hi_u32 s7, s25, s7
	s_mul_hi_u32 s26, s25, s0
	s_add_u32 s7, s7, s27
	s_addc_u32 s26, 0, s26
	s_add_u32 s7, s7, s24
	s_mul_hi_u32 s1, s19, s0
	s_addc_u32 s7, s26, s18
	s_addc_u32 s1, s1, 0
	s_mul_i32 s0, s19, s0
	s_add_u32 s0, s7, s0
	s_addc_u32 s7, 0, s1
	s_add_u32 s18, s25, s0
	s_cselect_b64 s[0:1], -1, 0
	s_cmp_lg_u64 s[0:1], 0
	v_add_co_u32_e32 v8, vcc, v10, v13
	s_addc_u32 s7, s19, s7
	v_xor_b32_e32 v17, v8, v13
	v_mad_u64_u32 v[8:9], s[0:1], v17, s7, 0
	v_mul_hi_u32 v16, v17, s18
	v_addc_co_u32_e32 v15, vcc, v11, v13, vcc
	v_xor_b32_e32 v18, v15, v13
	v_add_co_u32_e32 v19, vcc, v16, v8
	v_addc_co_u32_e32 v20, vcc, 0, v9, vcc
	v_mad_u64_u32 v[8:9], s[0:1], v18, s18, 0
	v_mad_u64_u32 v[15:16], s[0:1], v18, s7, 0
	v_add_co_u32_e32 v8, vcc, v19, v8
	v_addc_co_u32_e32 v8, vcc, v20, v9, vcc
	v_addc_co_u32_e32 v9, vcc, 0, v16, vcc
	v_add_co_u32_e32 v15, vcc, v8, v15
	v_addc_co_u32_e32 v16, vcc, 0, v9, vcc
	v_mul_lo_u32 v19, s13, v15
	v_mul_lo_u32 v20, s12, v16
	v_mad_u64_u32 v[8:9], s[0:1], s12, v15, 0
	v_xor_b32_e32 v13, s6, v13
	v_add3_u32 v9, v9, v20, v19
	v_sub_u32_e32 v19, v18, v9
	v_mov_b32_e32 v20, s13
	v_sub_co_u32_e32 v8, vcc, v17, v8
	v_subb_co_u32_e64 v17, s[0:1], v19, v20, vcc
	v_subrev_co_u32_e64 v19, s[0:1], s12, v8
	v_subbrev_co_u32_e64 v17, s[0:1], 0, v17, s[0:1]
	v_cmp_le_u32_e64 s[0:1], s13, v17
	v_cndmask_b32_e64 v20, 0, -1, s[0:1]
	v_cmp_le_u32_e64 s[0:1], s12, v19
	v_cndmask_b32_e64 v19, 0, -1, s[0:1]
	v_cmp_eq_u32_e64 s[0:1], s13, v17
	v_cndmask_b32_e64 v17, v20, v19, s[0:1]
	v_add_co_u32_e64 v19, s[0:1], 2, v15
	v_subb_co_u32_e32 v9, vcc, v18, v9, vcc
	v_addc_co_u32_e64 v20, s[0:1], 0, v16, s[0:1]
	v_cmp_le_u32_e32 vcc, s13, v9
	v_add_co_u32_e64 v21, s[0:1], 1, v15
	v_cndmask_b32_e64 v18, 0, -1, vcc
	v_cmp_le_u32_e32 vcc, s12, v8
	v_addc_co_u32_e64 v22, s[0:1], 0, v16, s[0:1]
	v_cndmask_b32_e64 v8, 0, -1, vcc
	v_cmp_eq_u32_e32 vcc, s13, v9
	v_cmp_ne_u32_e64 s[0:1], 0, v17
	v_cndmask_b32_e32 v8, v18, v8, vcc
	v_cndmask_b32_e64 v17, v22, v20, s[0:1]
	v_cmp_ne_u32_e32 vcc, 0, v8
	v_cndmask_b32_e64 v9, v21, v19, s[0:1]
	v_cndmask_b32_e32 v8, v16, v17, vcc
	v_cndmask_b32_e32 v9, v15, v9, vcc
	v_xor_b32_e32 v15, v8, v13
	v_xor_b32_e32 v8, v9, v13
	v_sub_co_u32_e32 v8, vcc, v8, v13
	v_subb_co_u32_e32 v9, vcc, v15, v13, vcc
.LBB8_19:
	s_andn2_saveexec_b64 s[0:1], s[2:3]
	s_cbranch_execz .LBB8_21
; %bb.20:
	v_cvt_f32_u32_e32 v8, s16
	s_sub_i32 s2, 0, s16
	v_rcp_iflag_f32_e32 v8, v8
	v_mul_f32_e32 v8, 0x4f7ffffe, v8
	v_cvt_u32_f32_e32 v8, v8
	v_mul_lo_u32 v9, s2, v8
	v_mul_hi_u32 v9, v8, v9
	v_add_u32_e32 v8, v8, v9
	v_mul_hi_u32 v8, v10, v8
	v_mul_lo_u32 v9, v8, s16
	v_add_u32_e32 v13, 1, v8
	v_sub_u32_e32 v9, v10, v9
	v_subrev_u32_e32 v15, s16, v9
	v_cmp_le_u32_e32 vcc, s16, v9
	v_cndmask_b32_e32 v9, v9, v15, vcc
	v_cndmask_b32_e32 v8, v8, v13, vcc
	v_add_u32_e32 v13, 1, v8
	v_cmp_le_u32_e32 vcc, s16, v9
	v_cndmask_b32_e32 v8, v8, v13, vcc
	v_mov_b32_e32 v9, 0
.LBB8_21:
	s_or_b64 exec, exec, s[0:1]
	v_mul_lo_u32 v13, s17, v8
	v_mul_lo_u32 v17, s16, v9
	v_mad_u64_u32 v[15:16], s[0:1], s16, v8, 0
	v_add3_u32 v13, v16, v17, v13
	v_sub_co_u32_e32 v16, vcc, v10, v15
	v_subb_co_u32_e32 v15, vcc, v11, v13, vcc
	v_or_b32_e32 v11, s41, v15
	v_mov_b32_e32 v10, 0
	v_cmp_ne_u64_e32 vcc, 0, v[10:11]
                                        ; implicit-def: $vgpr10_vgpr11
	s_and_saveexec_b64 s[0:1], vcc
	s_xor_b64 s[2:3], exec, s[0:1]
	s_cbranch_execz .LBB8_23
; %bb.22:
	s_ashr_i32 s6, s41, 31
	s_add_u32 s0, s40, s6
	s_mov_b32 s7, s6
	s_addc_u32 s1, s41, s6
	s_xor_b64 s[12:13], s[0:1], s[6:7]
	v_cvt_f32_u32_e32 v10, s12
	v_cvt_f32_u32_e32 v11, s13
	s_sub_u32 s7, 0, s12
	s_subb_u32 s16, 0, s13
	v_ashrrev_i32_e32 v13, 31, v15
	v_madmk_f32 v10, v11, 0x4f800000, v10
	v_rcp_f32_e32 v10, v10
	v_mul_f32_e32 v10, 0x5f7ffffc, v10
	v_mul_f32_e32 v11, 0x2f800000, v10
	v_trunc_f32_e32 v11, v11
	v_madmk_f32 v10, v11, 0xcf800000, v10
	v_cvt_u32_f32_e32 v11, v11
	v_cvt_u32_f32_e32 v10, v10
	v_readfirstlane_b32 s17, v11
	v_readfirstlane_b32 s0, v10
	s_mul_i32 s1, s7, s17
	s_mul_hi_u32 s19, s7, s0
	s_mul_i32 s18, s16, s0
	s_add_i32 s1, s19, s1
	s_add_i32 s1, s1, s18
	s_mul_i32 s24, s7, s0
	s_mul_i32 s19, s0, s1
	s_mul_hi_u32 s25, s0, s24
	s_mul_hi_u32 s18, s0, s1
	s_add_u32 s19, s25, s19
	s_addc_u32 s18, 0, s18
	s_mul_hi_u32 s26, s17, s24
	s_mul_i32 s24, s17, s24
	s_add_u32 s19, s19, s24
	s_mul_hi_u32 s25, s17, s1
	s_addc_u32 s18, s18, s26
	s_addc_u32 s19, s25, 0
	s_mul_i32 s1, s17, s1
	s_add_u32 s1, s18, s1
	s_addc_u32 s18, 0, s19
	s_add_u32 s19, s0, s1
	s_cselect_b64 s[0:1], -1, 0
	s_cmp_lg_u64 s[0:1], 0
	s_addc_u32 s17, s17, s18
	s_mul_i32 s0, s7, s17
	s_mul_hi_u32 s1, s7, s19
	s_add_i32 s0, s1, s0
	s_mul_i32 s16, s16, s19
	s_add_i32 s0, s0, s16
	s_mul_i32 s7, s7, s19
	s_mul_hi_u32 s16, s17, s7
	s_mul_i32 s18, s17, s7
	s_mul_i32 s25, s19, s0
	s_mul_hi_u32 s7, s19, s7
	s_mul_hi_u32 s24, s19, s0
	s_add_u32 s7, s7, s25
	s_addc_u32 s24, 0, s24
	s_add_u32 s7, s7, s18
	s_mul_hi_u32 s1, s17, s0
	s_addc_u32 s7, s24, s16
	s_addc_u32 s1, s1, 0
	s_mul_i32 s0, s17, s0
	s_add_u32 s0, s7, s0
	s_addc_u32 s7, 0, s1
	s_add_u32 s16, s19, s0
	s_cselect_b64 s[0:1], -1, 0
	s_cmp_lg_u64 s[0:1], 0
	v_add_co_u32_e32 v10, vcc, v16, v13
	s_addc_u32 s7, s17, s7
	v_xor_b32_e32 v19, v10, v13
	v_mad_u64_u32 v[10:11], s[0:1], v19, s7, 0
	v_mul_hi_u32 v18, v19, s16
	v_addc_co_u32_e32 v17, vcc, v15, v13, vcc
	v_xor_b32_e32 v20, v17, v13
	v_add_co_u32_e32 v21, vcc, v18, v10
	v_addc_co_u32_e32 v22, vcc, 0, v11, vcc
	v_mad_u64_u32 v[10:11], s[0:1], v20, s16, 0
	v_mad_u64_u32 v[17:18], s[0:1], v20, s7, 0
	v_add_co_u32_e32 v10, vcc, v21, v10
	v_addc_co_u32_e32 v10, vcc, v22, v11, vcc
	v_addc_co_u32_e32 v11, vcc, 0, v18, vcc
	v_add_co_u32_e32 v17, vcc, v10, v17
	v_addc_co_u32_e32 v18, vcc, 0, v11, vcc
	v_mul_lo_u32 v21, s13, v17
	v_mul_lo_u32 v22, s12, v18
	v_mad_u64_u32 v[10:11], s[0:1], s12, v17, 0
	v_xor_b32_e32 v13, s6, v13
	v_add3_u32 v11, v11, v22, v21
	v_sub_u32_e32 v21, v20, v11
	v_mov_b32_e32 v22, s13
	v_sub_co_u32_e32 v10, vcc, v19, v10
	v_subb_co_u32_e64 v19, s[0:1], v21, v22, vcc
	v_subrev_co_u32_e64 v21, s[0:1], s12, v10
	v_subbrev_co_u32_e64 v19, s[0:1], 0, v19, s[0:1]
	v_cmp_le_u32_e64 s[0:1], s13, v19
	v_cndmask_b32_e64 v22, 0, -1, s[0:1]
	v_cmp_le_u32_e64 s[0:1], s12, v21
	v_cndmask_b32_e64 v21, 0, -1, s[0:1]
	v_cmp_eq_u32_e64 s[0:1], s13, v19
	v_cndmask_b32_e64 v19, v22, v21, s[0:1]
	v_add_co_u32_e64 v21, s[0:1], 2, v17
	v_subb_co_u32_e32 v11, vcc, v20, v11, vcc
	v_addc_co_u32_e64 v22, s[0:1], 0, v18, s[0:1]
	v_cmp_le_u32_e32 vcc, s13, v11
	v_add_co_u32_e64 v23, s[0:1], 1, v17
	v_cndmask_b32_e64 v20, 0, -1, vcc
	v_cmp_le_u32_e32 vcc, s12, v10
	v_addc_co_u32_e64 v24, s[0:1], 0, v18, s[0:1]
	v_cndmask_b32_e64 v10, 0, -1, vcc
	v_cmp_eq_u32_e32 vcc, s13, v11
	v_cmp_ne_u32_e64 s[0:1], 0, v19
	v_cndmask_b32_e32 v10, v20, v10, vcc
	v_cndmask_b32_e64 v19, v24, v22, s[0:1]
	v_cmp_ne_u32_e32 vcc, 0, v10
	v_cndmask_b32_e64 v11, v23, v21, s[0:1]
	v_cndmask_b32_e32 v10, v18, v19, vcc
	v_cndmask_b32_e32 v11, v17, v11, vcc
	v_xor_b32_e32 v17, v10, v13
	v_xor_b32_e32 v10, v11, v13
	v_sub_co_u32_e32 v10, vcc, v10, v13
	v_subb_co_u32_e32 v11, vcc, v17, v13, vcc
.LBB8_23:
	s_andn2_saveexec_b64 s[0:1], s[2:3]
	s_cbranch_execz .LBB8_25
; %bb.24:
	v_cvt_f32_u32_e32 v10, s40
	s_sub_i32 s2, 0, s40
	v_rcp_iflag_f32_e32 v10, v10
	v_mul_f32_e32 v10, 0x4f7ffffe, v10
	v_cvt_u32_f32_e32 v10, v10
	v_mul_lo_u32 v11, s2, v10
	v_mul_hi_u32 v11, v10, v11
	v_add_u32_e32 v10, v10, v11
	v_mul_hi_u32 v10, v16, v10
	v_mul_lo_u32 v11, v10, s40
	v_add_u32_e32 v13, 1, v10
	v_sub_u32_e32 v11, v16, v11
	v_subrev_u32_e32 v17, s40, v11
	v_cmp_le_u32_e32 vcc, s40, v11
	v_cndmask_b32_e32 v11, v11, v17, vcc
	v_cndmask_b32_e32 v10, v10, v13, vcc
	v_add_u32_e32 v13, 1, v10
	v_cmp_le_u32_e32 vcc, s40, v11
	v_cndmask_b32_e32 v10, v10, v13, vcc
	v_mov_b32_e32 v11, 0
.LBB8_25:
	s_or_b64 exec, exec, s[0:1]
	v_mul_lo_u32 v13, v3, s14
	v_mul_lo_u32 v19, v2, s15
	v_mad_u64_u32 v[17:18], s[0:1], v2, s14, 0
	v_mul_lo_u32 v7, v7, s36
	v_mul_lo_u32 v3, v3, s22
	v_add3_u32 v18, v18, v19, v13
	v_sub_co_u32_e32 v17, vcc, v12, v17
	v_mul_lo_u32 v19, v6, s37
	v_mad_u64_u32 v[12:13], s[0:1], v6, s36, 0
	v_subb_co_u32_e32 v14, vcc, v14, v18, vcc
	v_add3_u32 v13, v13, v19, v7
	v_mov_b32_e32 v6, s8
	v_mov_b32_e32 v7, s9
	v_mad_u64_u32 v[6:7], s[0:1], v17, s20, v[6:7]
	v_mul_lo_u32 v14, v14, s20
	v_mul_lo_u32 v18, v17, s21
	;; [unrolled: 1-line block ×5, first 2 shown]
	v_add3_u32 v7, v14, v7, v18
	v_mad_u64_u32 v[6:7], s[0:1], v2, s22, v[6:7]
	s_mov_b32 s2, 0x41f80000
	v_add3_u32 v7, v3, v7, v19
	v_add_co_u32_e32 v6, vcc, v6, v12
	v_addc_co_u32_e32 v7, vcc, v7, v13, vcc
	v_mad_u64_u32 v[6:7], s[0:1], v0, s38, v[6:7]
	v_add3_u32 v7, v1, v7, v21
	global_load_dwordx4 v[22:25], v[6:7], off
	s_waitcnt vmcnt(0)
	v_cmp_lt_f32_e32 vcc, v23, v22
	v_cmp_gt_f32_e64 s[0:1], v23, v22
	v_cndmask_b32_e32 v20, v22, v23, vcc
	v_cndmask_b32_e64 v22, v22, v23, s[0:1]
	v_cmp_lt_f32_e32 vcc, v24, v20
	v_cmp_gt_f32_e64 s[0:1], v24, v22
	v_cndmask_b32_e32 v20, v20, v24, vcc
	v_cndmask_b32_e64 v22, v22, v24, s[0:1]
	v_cmp_lt_f32_e32 vcc, v25, v20
	v_cmp_gt_f32_e64 s[0:1], v25, v22
	v_cndmask_b32_e32 v20, v20, v25, vcc
	v_cndmask_b32_e64 v26, v22, v25, s[0:1]
	global_load_dwordx4 v[22:25], v[6:7], off offset:16
	s_waitcnt vmcnt(0)
	v_cmp_lt_f32_e32 vcc, v22, v20
	v_cmp_gt_f32_e64 s[0:1], v22, v26
	v_cndmask_b32_e32 v20, v20, v22, vcc
	v_cndmask_b32_e64 v22, v26, v22, s[0:1]
	v_cmp_lt_f32_e32 vcc, v23, v20
	v_cmp_gt_f32_e64 s[0:1], v23, v22
	v_cndmask_b32_e32 v20, v20, v23, vcc
	v_cndmask_b32_e64 v22, v22, v23, s[0:1]
	v_cmp_lt_f32_e32 vcc, v24, v20
	v_cmp_gt_f32_e64 s[0:1], v24, v22
	v_cndmask_b32_e32 v20, v20, v24, vcc
	v_cndmask_b32_e64 v22, v22, v24, s[0:1]
	v_cmp_lt_f32_e32 vcc, v25, v20
	v_cmp_gt_f32_e64 s[0:1], v25, v22
	v_cndmask_b32_e32 v20, v20, v25, vcc
	v_cndmask_b32_e64 v26, v22, v25, s[0:1]
	global_load_dwordx4 v[22:25], v[6:7], off offset:32
	s_waitcnt vmcnt(0)
	v_cmp_lt_f32_e32 vcc, v22, v20
	v_cmp_gt_f32_e64 s[0:1], v22, v26
	v_cndmask_b32_e32 v20, v20, v22, vcc
	v_cndmask_b32_e64 v22, v26, v22, s[0:1]
	;; [unrolled: 18-line block ×7, first 2 shown]
	v_cmp_lt_f32_e32 vcc, v23, v20
	v_cmp_gt_f32_e64 s[0:1], v23, v22
	v_cndmask_b32_e32 v20, v20, v23, vcc
	v_cndmask_b32_e64 v22, v22, v23, s[0:1]
	v_cmp_lt_f32_e32 vcc, v24, v20
	v_cmp_gt_f32_e64 s[0:1], v24, v22
	v_cndmask_b32_e32 v20, v20, v24, vcc
	v_cndmask_b32_e64 v22, v22, v24, s[0:1]
	v_cmp_lt_f32_e32 vcc, v25, v20
	v_cndmask_b32_e32 v20, v20, v25, vcc
	v_cmp_gt_f32_e32 vcc, v25, v22
	v_cndmask_b32_e32 v22, v22, v25, vcc
	v_sub_f32_e32 v24, v22, v20
	v_div_scale_f32 v22, s[0:1], s2, s2, v24
	v_mad_u64_u32 v[12:13], s[0:1], v0, s38, v[12:13]
	v_mul_lo_u32 v0, v11, s40
	v_add3_u32 v13, v1, v13, v21
	v_rcp_f32_e32 v23, v22
	v_fma_f32 v25, -v22, v23, 1.0
	v_fmac_f32_e32 v23, v25, v23
	v_div_scale_f32 v25, vcc, v24, s2, v24
	v_mul_f32_e32 v26, v25, v23
	v_fma_f32 v27, -v22, v26, v25
	v_fmac_f32_e32 v26, v27, v23
	v_fma_f32 v22, -v22, v26, v25
	v_div_fmas_f32 v25, v22, v23, v26
	v_mul_lo_u32 v22, v9, s50
	v_mul_lo_u32 v23, v8, s51
	v_mad_u64_u32 v[8:9], s[0:1], v8, s50, 0
	v_mul_lo_u32 v26, v10, s41
	v_add3_u32 v9, v9, v23, v22
	v_mad_u64_u32 v[22:23], s[0:1], v10, s40, 0
	v_sub_co_u32_e64 v16, s[0:1], v16, v22
	v_add3_u32 v0, v23, v26, v0
	v_div_fixup_f32 v21, v25, s2, v24
	v_div_scale_f32 v1, s[2:3], v21, v21, 1.0
	v_rcp_f32_e32 v22, v1
	v_fma_f32 v23, -v1, v22, 1.0
	v_fmac_f32_e32 v22, v23, v22
	v_div_scale_f32 v23, vcc, 1.0, v21, 1.0
	v_mul_f32_e32 v24, v23, v22
	v_fma_f32 v25, -v1, v24, v23
	v_fmac_f32_e32 v24, v25, v22
	v_fma_f32 v1, -v1, v24, v23
	v_div_fmas_f32 v22, v1, v22, v24
	v_subb_co_u32_e64 v1, vcc, v15, v0, s[0:1]
	v_ashrrev_i32_e32 v0, 31, v1
	v_lshrrev_b32_e32 v0, 27, v0
	v_add_co_u32_e32 v0, vcc, v16, v0
	v_addc_co_u32_e32 v1, vcc, 0, v1, vcc
	v_ashrrev_i64 v[15:16], 5, v[0:1]
	v_mov_b32_e32 v0, s10
	v_mov_b32_e32 v1, s11
	v_mad_u64_u32 v[0:1], s[0:1], v15, s46, v[0:1]
	v_mul_lo_u32 v23, v15, s47
	v_mul_lo_u32 v16, v16, s46
	;; [unrolled: 1-line block ×4, first 2 shown]
	v_add3_u32 v1, v16, v1, v23
	v_mad_u64_u32 v[0:1], s[0:1], v10, s48, v[0:1]
	s_load_dwordx2 s[0:1], s[4:5], 0x80
	s_mov_b32 s4, 0xffff
	v_add3_u32 v1, v25, v1, v24
	v_add_co_u32_e32 v0, vcc, v0, v8
	v_addc_co_u32_e32 v1, vcc, v1, v9, vcc
	s_waitcnt lgkmcnt(0)
	v_mad_u64_u32 v[8:9], s[2:3], v4, s0, v[8:9]
	v_mul_lo_u32 v26, v4, s1
	v_mul_lo_u32 v5, v5, s0
	v_mad_u64_u32 v[0:1], s[0:1], v4, s0, v[0:1]
	v_cvt_f16_f32_e32 v4, v21
	v_add3_u32 v9, v5, v9, v26
	v_mad_u64_u32 v[8:9], s[2:3], v10, s48, v[8:9]
	v_mad_u64_u32 v[10:11], s[2:3], v2, s22, v[12:13]
	v_add3_u32 v1, v5, v1, v26
	v_cvt_f16_f32_e32 v5, v20
	v_add3_u32 v9, v25, v9, v24
	v_mad_u64_u32 v[8:9], s[0:1], v15, s46, v[8:9]
	v_div_fixup_f32 v2, v22, v21, 1.0
	v_cmp_neq_f32_e32 vcc, 0, v21
	v_pack_b32_f16 v4, v4, v5
	v_add3_u32 v11, v3, v11, v19
	global_store_dword v[0:1], v4, off
	v_cndmask_b32_e32 v4, 0, v2, vcc
	v_mad_u64_u32 v[2:3], s[2:3], v17, s20, v[10:11]
	v_add3_u32 v9, v16, v9, v23
	v_mov_b32_e32 v12, s11
	v_add_co_u32_e32 v5, vcc, s10, v8
	v_addc_co_u32_e32 v8, vcc, v12, v9, vcc
	v_add3_u32 v3, v14, v3, v18
	v_mov_b32_e32 v9, s9
	v_add_co_u32_e32 v2, vcc, s8, v2
	v_addc_co_u32_e32 v3, vcc, v9, v3, vcc
	v_add_co_u32_e32 v2, vcc, 64, v2
	s_mov_b32 s1, 0
	v_addc_co_u32_e32 v3, vcc, 0, v3, vcc
	v_mov_b32_e32 v10, 0
	s_mov_b64 s[2:3], 0
	v_mov_b32_e32 v9, 15
	v_mov_b32_e32 v11, 0
	;; [unrolled: 1-line block ×3, first 2 shown]
.LBB8_26:                               ; =>This Inner Loop Header: Depth=1
	s_or_b32 s0, s2, 17
	s_lshl_b64 s[6:7], s[0:1], 2
	v_mov_b32_e32 v14, s7
	v_add_co_u32_e32 v13, vcc, s6, v6
	v_addc_co_u32_e32 v14, vcc, v7, v14, vcc
	global_load_dword v13, v[13:14], off
	v_and_b32_e32 v11, 0xff0000, v11
	v_and_or_b32 v10, v10, s4, v12
	s_add_i32 s5, s2, 16
	s_add_i32 s8, s2, 3
	s_waitcnt vmcnt(0)
	v_sub_f32_e32 v13, v13, v20
	v_fma_f32 v13, v4, v13, 0.5
	v_cvt_i32_f32_e32 v19, v13
	v_lshrrev_b16_e32 v13, 4, v19
	v_and_b32_e32 v13, 1, v13
	v_lshlrev_b32_sdwa v21, s0, v13 dst_sel:DWORD dst_unused:UNUSED_PAD src0_sel:DWORD src1_sel:WORD_0
	s_or_b32 s0, s2, 18
	s_lshl_b64 s[6:7], s[0:1], 2
	v_mov_b32_e32 v13, s7
	v_add_co_u32_e32 v17, vcc, s6, v6
	v_addc_co_u32_e32 v18, vcc, v7, v13, vcc
	global_load_dword v22, v[17:18], off
	global_load_dwordx4 v[13:16], v[2:3], off offset:-64
	global_load_dword v23, v[2:3], off
	v_lshlrev_b16_e32 v19, 12, v19
	s_waitcnt vmcnt(2)
	v_sub_f32_e32 v17, v22, v20
	v_fma_f32 v17, v4, v17, 0.5
	v_cvt_i32_f32_e32 v22, v17
	s_waitcnt vmcnt(1)
	v_sub_f32_e32 v14, v14, v20
	s_waitcnt vmcnt(0)
	v_sub_f32_e32 v23, v23, v20
	v_fma_f32 v23, v4, v23, 0.5
	v_lshrrev_b16_e32 v17, 4, v22
	v_and_b32_e32 v17, 1, v17
	v_lshlrev_b32_sdwa v24, s0, v17 dst_sel:DWORD dst_unused:UNUSED_PAD src0_sel:DWORD src1_sel:WORD_0
	s_or_b32 s0, s2, 19
	s_lshl_b64 s[6:7], s[0:1], 2
	v_mov_b32_e32 v18, s7
	v_add_co_u32_e32 v17, vcc, s6, v6
	v_addc_co_u32_e32 v18, vcc, v7, v18, vcc
	global_load_dword v17, v[17:18], off
	v_sub_f32_e32 v18, v13, v20
	v_fma_f32 v18, v4, v18, 0.5
	v_cvt_i32_f32_e32 v18, v18
	v_fma_f32 v14, v4, v14, 0.5
	v_cvt_i32_f32_e32 v23, v23
	v_cvt_i32_f32_e32 v14, v14
	v_sub_f32_e32 v15, v15, v20
	v_lshrrev_b16_e32 v25, 4, v18
	v_fma_f32 v15, v4, v15, 0.5
	v_and_b32_e32 v25, 1, v25
	v_cvt_i32_f32_e32 v15, v15
	v_lshlrev_b32_sdwa v25, s2, v25 dst_sel:DWORD dst_unused:UNUSED_PAD src0_sel:DWORD src1_sel:WORD_0
	v_or3_b32 v10, v10, v11, v25
	v_lshrrev_b16_e32 v11, 4, v23
	v_lshrrev_b16_e32 v25, 4, v14
	s_add_i32 s6, s2, 1
	v_and_b32_e32 v11, 1, v11
	v_and_b32_e32 v25, 1, v25
	v_lshlrev_b32_sdwa v11, s5, v11 dst_sel:DWORD dst_unused:UNUSED_PAD src0_sel:DWORD src1_sel:WORD_0
	v_lshlrev_b32_sdwa v25, s6, v25 dst_sel:DWORD dst_unused:UNUSED_PAD src0_sel:DWORD src1_sel:WORD_0
	v_or3_b32 v10, v10, v11, v25
	v_lshrrev_b16_e32 v11, 4, v15
	s_add_i32 s7, s2, 2
	v_and_b32_e32 v11, 1, v11
	v_lshlrev_b32_sdwa v11, s7, v11 dst_sel:DWORD dst_unused:UNUSED_PAD src0_sel:DWORD src1_sel:WORD_0
	v_sub_f32_e32 v16, v16, v20
	v_and_b32_e32 v15, 15, v15
	v_or3_b32 v10, v10, v21, v11
	v_lshlrev_b16_e32 v11, 4, v22
	v_fma_f32 v16, v4, v16, 0.5
	v_or_b32_e32 v11, v11, v15
	v_cvt_i32_f32_e32 v16, v16
	v_add_co_u32_e32 v2, vcc, 16, v2
	v_and_b32_e32 v18, 15, v18
	v_lshrrev_b16_e32 v25, 4, v16
	v_lshlrev_b16_e32 v23, 4, v23
	v_and_b32_sdwa v14, v14, v9 dst_sel:BYTE_1 dst_unused:UNUSED_PAD src0_sel:DWORD src1_sel:DWORD
	v_and_b32_sdwa v16, v16, v9 dst_sel:BYTE_1 dst_unused:UNUSED_PAD src0_sel:DWORD src1_sel:DWORD
	v_and_b32_e32 v25, 1, v25
	v_addc_co_u32_e32 v3, vcc, 0, v3, vcc
	v_or_b32_e32 v18, v23, v18
	v_lshlrev_b32_sdwa v23, s8, v25 dst_sel:DWORD dst_unused:UNUSED_PAD src0_sel:DWORD src1_sel:WORD_0
	v_or_b32_e32 v14, v19, v14
	v_mov_b32_e32 v13, s3
	v_add_co_u32_e32 v12, vcc, s2, v5
	v_or_b32_sdwa v14, v18, v14 dst_sel:DWORD dst_unused:UNUSED_PAD src0_sel:BYTE_0 src1_sel:DWORD
	v_or3_b32 v10, v10, v24, v23
	s_add_u32 s2, s2, 4
	v_addc_co_u32_e32 v13, vcc, v8, v13, vcc
	s_addc_u32 s3, s3, 0
	s_cmp_lg_u32 s2, 16
	s_waitcnt vmcnt(0)
	v_sub_f32_e32 v15, v17, v20
	v_fma_f32 v15, v4, v15, 0.5
	v_cvt_i32_f32_e32 v15, v15
	v_lshlrev_b16_e32 v17, 12, v15
	v_lshrrev_b16_e32 v15, 4, v15
	v_or_b32_e32 v16, v17, v16
	v_and_b32_e32 v15, 1, v15
	v_or_b32_sdwa v11, v11, v16 dst_sel:WORD_1 dst_unused:UNUSED_PAD src0_sel:BYTE_0 src1_sel:DWORD
	v_and_b32_e32 v15, 0xffff, v15
	v_or_b32_sdwa v14, v14, v11 dst_sel:DWORD dst_unused:UNUSED_PAD src0_sel:WORD_0 src1_sel:DWORD
	v_lshl_or_b32 v11, v15, s0, v10
	global_store_dword v[12:13], v14, off offset:8
	v_and_b32_e32 v12, 0xff000000, v11
	s_cbranch_scc1 .LBB8_26
; %bb.27:
	s_mov_b32 s0, 0xffff
	v_bfi_b32 v2, s0, v10, v11
	global_store_dword v[0:1], v2, off offset:4
.LBB8_28:
	s_endpgm
	.section	.rodata,"a",@progbits
	.p2align	6, 0x0
	.amdhsa_kernel _ZL9cpy_f32_qIXadL_ZL17cpy_blck_f32_q5_1PKcPcEELi32EEvS1_S2_lllllllllllllll
		.amdhsa_group_segment_fixed_size 0
		.amdhsa_private_segment_fixed_size 0
		.amdhsa_kernarg_size 392
		.amdhsa_user_sgpr_count 6
		.amdhsa_user_sgpr_private_segment_buffer 1
		.amdhsa_user_sgpr_dispatch_ptr 0
		.amdhsa_user_sgpr_queue_ptr 0
		.amdhsa_user_sgpr_kernarg_segment_ptr 1
		.amdhsa_user_sgpr_dispatch_id 0
		.amdhsa_user_sgpr_flat_scratch_init 0
		.amdhsa_user_sgpr_private_segment_size 0
		.amdhsa_uses_dynamic_stack 0
		.amdhsa_system_sgpr_private_segment_wavefront_offset 0
		.amdhsa_system_sgpr_workgroup_id_x 1
		.amdhsa_system_sgpr_workgroup_id_y 0
		.amdhsa_system_sgpr_workgroup_id_z 0
		.amdhsa_system_sgpr_workgroup_info 0
		.amdhsa_system_vgpr_workitem_id 0
		.amdhsa_next_free_vgpr 28
		.amdhsa_next_free_sgpr 52
		.amdhsa_reserve_vcc 1
		.amdhsa_reserve_flat_scratch 0
		.amdhsa_float_round_mode_32 0
		.amdhsa_float_round_mode_16_64 0
		.amdhsa_float_denorm_mode_32 3
		.amdhsa_float_denorm_mode_16_64 3
		.amdhsa_dx10_clamp 1
		.amdhsa_ieee_mode 1
		.amdhsa_fp16_overflow 0
		.amdhsa_exception_fp_ieee_invalid_op 0
		.amdhsa_exception_fp_denorm_src 0
		.amdhsa_exception_fp_ieee_div_zero 0
		.amdhsa_exception_fp_ieee_overflow 0
		.amdhsa_exception_fp_ieee_underflow 0
		.amdhsa_exception_fp_ieee_inexact 0
		.amdhsa_exception_int_div_zero 0
	.end_amdhsa_kernel
	.section	.text._ZL9cpy_f32_qIXadL_ZL17cpy_blck_f32_q5_1PKcPcEELi32EEvS1_S2_lllllllllllllll,"axG",@progbits,_ZL9cpy_f32_qIXadL_ZL17cpy_blck_f32_q5_1PKcPcEELi32EEvS1_S2_lllllllllllllll,comdat
.Lfunc_end8:
	.size	_ZL9cpy_f32_qIXadL_ZL17cpy_blck_f32_q5_1PKcPcEELi32EEvS1_S2_lllllllllllllll, .Lfunc_end8-_ZL9cpy_f32_qIXadL_ZL17cpy_blck_f32_q5_1PKcPcEELi32EEvS1_S2_lllllllllllllll
                                        ; -- End function
	.set _ZL9cpy_f32_qIXadL_ZL17cpy_blck_f32_q5_1PKcPcEELi32EEvS1_S2_lllllllllllllll.num_vgpr, 28
	.set _ZL9cpy_f32_qIXadL_ZL17cpy_blck_f32_q5_1PKcPcEELi32EEvS1_S2_lllllllllllllll.num_agpr, 0
	.set _ZL9cpy_f32_qIXadL_ZL17cpy_blck_f32_q5_1PKcPcEELi32EEvS1_S2_lllllllllllllll.numbered_sgpr, 52
	.set _ZL9cpy_f32_qIXadL_ZL17cpy_blck_f32_q5_1PKcPcEELi32EEvS1_S2_lllllllllllllll.num_named_barrier, 0
	.set _ZL9cpy_f32_qIXadL_ZL17cpy_blck_f32_q5_1PKcPcEELi32EEvS1_S2_lllllllllllllll.private_seg_size, 0
	.set _ZL9cpy_f32_qIXadL_ZL17cpy_blck_f32_q5_1PKcPcEELi32EEvS1_S2_lllllllllllllll.uses_vcc, 1
	.set _ZL9cpy_f32_qIXadL_ZL17cpy_blck_f32_q5_1PKcPcEELi32EEvS1_S2_lllllllllllllll.uses_flat_scratch, 0
	.set _ZL9cpy_f32_qIXadL_ZL17cpy_blck_f32_q5_1PKcPcEELi32EEvS1_S2_lllllllllllllll.has_dyn_sized_stack, 0
	.set _ZL9cpy_f32_qIXadL_ZL17cpy_blck_f32_q5_1PKcPcEELi32EEvS1_S2_lllllllllllllll.has_recursion, 0
	.set _ZL9cpy_f32_qIXadL_ZL17cpy_blck_f32_q5_1PKcPcEELi32EEvS1_S2_lllllllllllllll.has_indirect_call, 0
	.section	.AMDGPU.csdata,"",@progbits
; Kernel info:
; codeLenInByte = 7016
; TotalNumSgprs: 56
; NumVgprs: 28
; ScratchSize: 0
; MemoryBound: 0
; FloatMode: 240
; IeeeMode: 1
; LDSByteSize: 0 bytes/workgroup (compile time only)
; SGPRBlocks: 6
; VGPRBlocks: 6
; NumSGPRsForWavesPerEU: 56
; NumVGPRsForWavesPerEU: 28
; Occupancy: 9
; WaveLimiterHint : 0
; COMPUTE_PGM_RSRC2:SCRATCH_EN: 0
; COMPUTE_PGM_RSRC2:USER_SGPR: 6
; COMPUTE_PGM_RSRC2:TRAP_HANDLER: 0
; COMPUTE_PGM_RSRC2:TGID_X_EN: 1
; COMPUTE_PGM_RSRC2:TGID_Y_EN: 0
; COMPUTE_PGM_RSRC2:TGID_Z_EN: 0
; COMPUTE_PGM_RSRC2:TIDIG_COMP_CNT: 0
	.section	.text._ZL9cpy_q_f32IXadL_ZL14cpy_blck_q_f32IXadL_ZL15dequantize_q5_1PKvliR15HIP_vector_typeIfLj2EEEELi32EEvPKcPcEELi32EEvS7_S8_lllllllllllllll,"axG",@progbits,_ZL9cpy_q_f32IXadL_ZL14cpy_blck_q_f32IXadL_ZL15dequantize_q5_1PKvliR15HIP_vector_typeIfLj2EEEELi32EEvPKcPcEELi32EEvS7_S8_lllllllllllllll,comdat
	.globl	_ZL9cpy_q_f32IXadL_ZL14cpy_blck_q_f32IXadL_ZL15dequantize_q5_1PKvliR15HIP_vector_typeIfLj2EEEELi32EEvPKcPcEELi32EEvS7_S8_lllllllllllllll ; -- Begin function _ZL9cpy_q_f32IXadL_ZL14cpy_blck_q_f32IXadL_ZL15dequantize_q5_1PKvliR15HIP_vector_typeIfLj2EEEELi32EEvPKcPcEELi32EEvS7_S8_lllllllllllllll
	.p2align	8
	.type	_ZL9cpy_q_f32IXadL_ZL14cpy_blck_q_f32IXadL_ZL15dequantize_q5_1PKvliR15HIP_vector_typeIfLj2EEEELi32EEvPKcPcEELi32EEvS7_S8_lllllllllllllll,@function
_ZL9cpy_q_f32IXadL_ZL14cpy_blck_q_f32IXadL_ZL15dequantize_q5_1PKvliR15HIP_vector_typeIfLj2EEEELi32EEvPKcPcEELi32EEvS7_S8_lllllllllllllll: ; @_ZL9cpy_q_f32IXadL_ZL14cpy_blck_q_f32IXadL_ZL15dequantize_q5_1PKvliR15HIP_vector_typeIfLj2EEEELi32EEvPKcPcEELi32EEvS7_S8_lllllllllllllll
; %bb.0:
	s_load_dword s0, s[4:5], 0x94
	v_mov_b32_e32 v2, 0
	v_mov_b32_e32 v1, v2
	;; [unrolled: 1-line block ×3, first 2 shown]
	s_load_dwordx16 s[8:23], s[4:5], 0x0
	s_waitcnt lgkmcnt(0)
	s_and_b32 s0, s0, 0xffff
	v_mad_u64_u32 v[0:1], s[0:1], s0, v3, v[0:1]
	v_lshlrev_b64 v[4:5], 5, v[0:1]
	v_cmp_gt_i64_e32 vcc, s[12:13], v[4:5]
	s_and_saveexec_b64 s[0:1], vcc
	s_cbranch_execz .LBB9_26
; %bb.1:
	s_mul_i32 s0, s16, s15
	s_mul_hi_u32 s1, s16, s14
	s_add_i32 s0, s1, s0
	s_mul_i32 s1, s17, s14
	s_mul_i32 s16, s16, s14
	s_add_i32 s17, s0, s1
	s_mul_i32 s0, s16, s19
	s_mul_hi_u32 s1, s16, s18
	s_add_i32 s0, s1, s0
	s_mul_i32 s1, s17, s18
	s_add_i32 s19, s0, s1
	v_or_b32_e32 v3, s19, v5
	v_cmp_ne_u64_e32 vcc, 0, v[2:3]
	s_mul_i32 s18, s16, s18
	v_ashrrev_i32_e32 v10, 31, v5
                                        ; implicit-def: $vgpr0_vgpr1
	s_and_saveexec_b64 s[0:1], vcc
	s_xor_b64 s[2:3], exec, s[0:1]
	s_cbranch_execz .LBB9_3
; %bb.2:
	s_ashr_i32 s6, s19, 31
	s_add_u32 s0, s18, s6
	s_mov_b32 s7, s6
	s_addc_u32 s1, s19, s6
	s_xor_b64 s[12:13], s[0:1], s[6:7]
	v_cvt_f32_u32_e32 v0, s12
	v_cvt_f32_u32_e32 v1, s13
	s_sub_u32 s7, 0, s12
	s_subb_u32 s24, 0, s13
	v_madmk_f32 v0, v1, 0x4f800000, v0
	v_rcp_f32_e32 v0, v0
	v_mul_f32_e32 v0, 0x5f7ffffc, v0
	v_mul_f32_e32 v1, 0x2f800000, v0
	v_trunc_f32_e32 v1, v1
	v_madmk_f32 v0, v1, 0xcf800000, v0
	v_cvt_u32_f32_e32 v1, v1
	v_cvt_u32_f32_e32 v0, v0
	v_readfirstlane_b32 s25, v1
	v_readfirstlane_b32 s0, v0
	s_mul_i32 s1, s7, s25
	s_mul_hi_u32 s27, s7, s0
	s_mul_i32 s26, s24, s0
	s_add_i32 s1, s27, s1
	s_add_i32 s1, s1, s26
	s_mul_i32 s28, s7, s0
	s_mul_i32 s27, s0, s1
	s_mul_hi_u32 s29, s0, s28
	s_mul_hi_u32 s26, s0, s1
	s_add_u32 s27, s29, s27
	s_addc_u32 s26, 0, s26
	s_mul_hi_u32 s30, s25, s28
	s_mul_i32 s28, s25, s28
	s_add_u32 s27, s27, s28
	s_mul_hi_u32 s29, s25, s1
	s_addc_u32 s26, s26, s30
	s_addc_u32 s27, s29, 0
	s_mul_i32 s1, s25, s1
	s_add_u32 s1, s26, s1
	s_addc_u32 s26, 0, s27
	s_add_u32 s27, s0, s1
	s_cselect_b64 s[0:1], -1, 0
	s_cmp_lg_u64 s[0:1], 0
	s_addc_u32 s25, s25, s26
	s_mul_i32 s0, s7, s25
	s_mul_hi_u32 s1, s7, s27
	s_add_i32 s0, s1, s0
	s_mul_i32 s24, s24, s27
	s_add_i32 s0, s0, s24
	s_mul_i32 s7, s7, s27
	s_mul_hi_u32 s24, s25, s7
	s_mul_i32 s26, s25, s7
	s_mul_i32 s29, s27, s0
	s_mul_hi_u32 s7, s27, s7
	s_mul_hi_u32 s28, s27, s0
	s_add_u32 s7, s7, s29
	s_addc_u32 s28, 0, s28
	s_add_u32 s7, s7, s26
	s_mul_hi_u32 s1, s25, s0
	s_addc_u32 s7, s28, s24
	s_addc_u32 s1, s1, 0
	s_mul_i32 s0, s25, s0
	s_add_u32 s0, s7, s0
	s_addc_u32 s7, 0, s1
	s_add_u32 s24, s27, s0
	s_cselect_b64 s[0:1], -1, 0
	s_cmp_lg_u64 s[0:1], 0
	v_add_co_u32_e32 v0, vcc, v4, v10
	s_addc_u32 s7, s25, s7
	v_xor_b32_e32 v6, v0, v10
	v_mad_u64_u32 v[0:1], s[0:1], v6, s7, 0
	v_mul_hi_u32 v3, v6, s24
	v_addc_co_u32_e32 v2, vcc, v5, v10, vcc
	v_xor_b32_e32 v7, v2, v10
	v_add_co_u32_e32 v8, vcc, v3, v0
	v_addc_co_u32_e32 v9, vcc, 0, v1, vcc
	v_mad_u64_u32 v[0:1], s[0:1], v7, s24, 0
	v_mad_u64_u32 v[2:3], s[0:1], v7, s7, 0
	v_add_co_u32_e32 v0, vcc, v8, v0
	v_addc_co_u32_e32 v0, vcc, v9, v1, vcc
	v_addc_co_u32_e32 v1, vcc, 0, v3, vcc
	v_add_co_u32_e32 v2, vcc, v0, v2
	v_addc_co_u32_e32 v3, vcc, 0, v1, vcc
	v_mul_lo_u32 v8, s13, v2
	v_mul_lo_u32 v9, s12, v3
	v_mad_u64_u32 v[0:1], s[0:1], s12, v2, 0
	v_add3_u32 v1, v1, v9, v8
	v_sub_u32_e32 v8, v7, v1
	v_mov_b32_e32 v9, s13
	v_sub_co_u32_e32 v0, vcc, v6, v0
	v_subb_co_u32_e64 v6, s[0:1], v8, v9, vcc
	v_subrev_co_u32_e64 v8, s[0:1], s12, v0
	v_subbrev_co_u32_e64 v6, s[0:1], 0, v6, s[0:1]
	v_cmp_le_u32_e64 s[0:1], s13, v6
	v_cndmask_b32_e64 v9, 0, -1, s[0:1]
	v_cmp_le_u32_e64 s[0:1], s12, v8
	v_cndmask_b32_e64 v8, 0, -1, s[0:1]
	v_cmp_eq_u32_e64 s[0:1], s13, v6
	v_cndmask_b32_e64 v6, v9, v8, s[0:1]
	v_add_co_u32_e64 v8, s[0:1], 2, v2
	v_subb_co_u32_e32 v1, vcc, v7, v1, vcc
	v_addc_co_u32_e64 v9, s[0:1], 0, v3, s[0:1]
	v_cmp_le_u32_e32 vcc, s13, v1
	v_add_co_u32_e64 v11, s[0:1], 1, v2
	v_cndmask_b32_e64 v7, 0, -1, vcc
	v_cmp_le_u32_e32 vcc, s12, v0
	v_addc_co_u32_e64 v12, s[0:1], 0, v3, s[0:1]
	v_cndmask_b32_e64 v0, 0, -1, vcc
	v_cmp_eq_u32_e32 vcc, s13, v1
	v_cmp_ne_u32_e64 s[0:1], 0, v6
	v_cndmask_b32_e32 v0, v7, v0, vcc
	v_cndmask_b32_e64 v6, v12, v9, s[0:1]
	v_cmp_ne_u32_e32 vcc, 0, v0
	v_cndmask_b32_e64 v1, v11, v8, s[0:1]
	v_cndmask_b32_e32 v0, v3, v6, vcc
	v_cndmask_b32_e32 v1, v2, v1, vcc
	v_xor_b32_e32 v2, s6, v10
	v_xor_b32_e32 v3, v0, v2
	;; [unrolled: 1-line block ×3, first 2 shown]
	v_sub_co_u32_e32 v0, vcc, v0, v2
	v_subb_co_u32_e32 v1, vcc, v3, v2, vcc
.LBB9_3:
	s_andn2_saveexec_b64 s[0:1], s[2:3]
	s_cbranch_execz .LBB9_5
; %bb.4:
	v_cvt_f32_u32_e32 v0, s18
	s_sub_i32 s2, 0, s18
	v_rcp_iflag_f32_e32 v0, v0
	v_mul_f32_e32 v0, 0x4f7ffffe, v0
	v_cvt_u32_f32_e32 v0, v0
	v_mul_lo_u32 v1, s2, v0
	v_mul_hi_u32 v1, v0, v1
	v_add_u32_e32 v0, v0, v1
	v_mul_hi_u32 v0, v4, v0
	v_mul_lo_u32 v1, v0, s18
	v_add_u32_e32 v2, 1, v0
	v_sub_u32_e32 v1, v4, v1
	v_subrev_u32_e32 v3, s18, v1
	v_cmp_le_u32_e32 vcc, s18, v1
	v_cndmask_b32_e32 v1, v1, v3, vcc
	v_cndmask_b32_e32 v0, v0, v2, vcc
	v_add_u32_e32 v2, 1, v0
	v_cmp_le_u32_e32 vcc, s18, v1
	v_cndmask_b32_e32 v0, v0, v2, vcc
	v_mov_b32_e32 v1, 0
.LBB9_5:
	s_or_b64 exec, exec, s[0:1]
	v_mul_lo_u32 v6, s19, v0
	v_mul_lo_u32 v7, s18, v1
	v_mad_u64_u32 v[2:3], s[0:1], s18, v0, 0
	v_add3_u32 v3, v3, v7, v6
	v_sub_co_u32_e32 v6, vcc, v4, v2
	v_subb_co_u32_e32 v7, vcc, v5, v3, vcc
	v_or_b32_e32 v3, s17, v7
	v_mov_b32_e32 v2, 0
	v_cmp_ne_u64_e32 vcc, 0, v[2:3]
                                        ; implicit-def: $vgpr2_vgpr3
	s_and_saveexec_b64 s[0:1], vcc
	s_xor_b64 s[2:3], exec, s[0:1]
	s_cbranch_execz .LBB9_7
; %bb.6:
	s_ashr_i32 s6, s17, 31
	s_add_u32 s0, s16, s6
	s_mov_b32 s7, s6
	s_addc_u32 s1, s17, s6
	s_xor_b64 s[12:13], s[0:1], s[6:7]
	v_cvt_f32_u32_e32 v2, s12
	v_cvt_f32_u32_e32 v3, s13
	s_sub_u32 s7, 0, s12
	s_subb_u32 s18, 0, s13
	v_ashrrev_i32_e32 v11, 31, v7
	v_madmk_f32 v2, v3, 0x4f800000, v2
	v_rcp_f32_e32 v2, v2
	v_mul_f32_e32 v2, 0x5f7ffffc, v2
	v_mul_f32_e32 v3, 0x2f800000, v2
	v_trunc_f32_e32 v3, v3
	v_madmk_f32 v2, v3, 0xcf800000, v2
	v_cvt_u32_f32_e32 v3, v3
	v_cvt_u32_f32_e32 v2, v2
	v_readfirstlane_b32 s19, v3
	v_readfirstlane_b32 s0, v2
	s_mul_i32 s1, s7, s19
	s_mul_hi_u32 s25, s7, s0
	s_mul_i32 s24, s18, s0
	s_add_i32 s1, s25, s1
	s_add_i32 s1, s1, s24
	s_mul_i32 s26, s7, s0
	s_mul_i32 s25, s0, s1
	s_mul_hi_u32 s27, s0, s26
	s_mul_hi_u32 s24, s0, s1
	s_add_u32 s25, s27, s25
	s_addc_u32 s24, 0, s24
	s_mul_hi_u32 s28, s19, s26
	s_mul_i32 s26, s19, s26
	s_add_u32 s25, s25, s26
	s_mul_hi_u32 s27, s19, s1
	s_addc_u32 s24, s24, s28
	s_addc_u32 s25, s27, 0
	s_mul_i32 s1, s19, s1
	s_add_u32 s1, s24, s1
	s_addc_u32 s24, 0, s25
	s_add_u32 s25, s0, s1
	s_cselect_b64 s[0:1], -1, 0
	s_cmp_lg_u64 s[0:1], 0
	s_addc_u32 s19, s19, s24
	s_mul_i32 s0, s7, s19
	s_mul_hi_u32 s1, s7, s25
	s_add_i32 s0, s1, s0
	s_mul_i32 s18, s18, s25
	s_add_i32 s0, s0, s18
	s_mul_i32 s7, s7, s25
	s_mul_hi_u32 s18, s19, s7
	s_mul_i32 s24, s19, s7
	s_mul_i32 s27, s25, s0
	s_mul_hi_u32 s7, s25, s7
	s_mul_hi_u32 s26, s25, s0
	s_add_u32 s7, s7, s27
	s_addc_u32 s26, 0, s26
	s_add_u32 s7, s7, s24
	s_mul_hi_u32 s1, s19, s0
	s_addc_u32 s7, s26, s18
	s_addc_u32 s1, s1, 0
	s_mul_i32 s0, s19, s0
	s_add_u32 s0, s7, s0
	s_addc_u32 s7, 0, s1
	s_add_u32 s18, s25, s0
	s_cselect_b64 s[0:1], -1, 0
	s_cmp_lg_u64 s[0:1], 0
	v_add_co_u32_e32 v2, vcc, v6, v11
	s_addc_u32 s7, s19, s7
	v_xor_b32_e32 v12, v2, v11
	v_mad_u64_u32 v[2:3], s[0:1], v12, s7, 0
	v_mul_hi_u32 v9, v12, s18
	v_addc_co_u32_e32 v8, vcc, v7, v11, vcc
	v_xor_b32_e32 v13, v8, v11
	v_add_co_u32_e32 v14, vcc, v9, v2
	v_addc_co_u32_e32 v15, vcc, 0, v3, vcc
	v_mad_u64_u32 v[2:3], s[0:1], v13, s18, 0
	v_mad_u64_u32 v[8:9], s[0:1], v13, s7, 0
	v_add_co_u32_e32 v2, vcc, v14, v2
	v_addc_co_u32_e32 v2, vcc, v15, v3, vcc
	v_addc_co_u32_e32 v3, vcc, 0, v9, vcc
	v_add_co_u32_e32 v8, vcc, v2, v8
	v_addc_co_u32_e32 v9, vcc, 0, v3, vcc
	v_mul_lo_u32 v14, s13, v8
	v_mul_lo_u32 v15, s12, v9
	v_mad_u64_u32 v[2:3], s[0:1], s12, v8, 0
	v_add3_u32 v3, v3, v15, v14
	v_sub_u32_e32 v14, v13, v3
	v_mov_b32_e32 v15, s13
	v_sub_co_u32_e32 v2, vcc, v12, v2
	v_subb_co_u32_e64 v12, s[0:1], v14, v15, vcc
	v_subrev_co_u32_e64 v14, s[0:1], s12, v2
	v_subbrev_co_u32_e64 v12, s[0:1], 0, v12, s[0:1]
	v_cmp_le_u32_e64 s[0:1], s13, v12
	v_cndmask_b32_e64 v15, 0, -1, s[0:1]
	v_cmp_le_u32_e64 s[0:1], s12, v14
	v_cndmask_b32_e64 v14, 0, -1, s[0:1]
	v_cmp_eq_u32_e64 s[0:1], s13, v12
	v_cndmask_b32_e64 v12, v15, v14, s[0:1]
	v_add_co_u32_e64 v14, s[0:1], 2, v8
	v_subb_co_u32_e32 v3, vcc, v13, v3, vcc
	v_addc_co_u32_e64 v15, s[0:1], 0, v9, s[0:1]
	v_cmp_le_u32_e32 vcc, s13, v3
	v_add_co_u32_e64 v16, s[0:1], 1, v8
	v_cndmask_b32_e64 v13, 0, -1, vcc
	v_cmp_le_u32_e32 vcc, s12, v2
	v_addc_co_u32_e64 v17, s[0:1], 0, v9, s[0:1]
	v_cndmask_b32_e64 v2, 0, -1, vcc
	v_cmp_eq_u32_e32 vcc, s13, v3
	v_cmp_ne_u32_e64 s[0:1], 0, v12
	v_cndmask_b32_e32 v2, v13, v2, vcc
	v_cndmask_b32_e64 v12, v17, v15, s[0:1]
	v_cmp_ne_u32_e32 vcc, 0, v2
	v_cndmask_b32_e64 v3, v16, v14, s[0:1]
	v_cndmask_b32_e32 v2, v9, v12, vcc
	v_cndmask_b32_e32 v3, v8, v3, vcc
	v_xor_b32_e32 v8, s6, v11
	v_xor_b32_e32 v9, v2, v8
	;; [unrolled: 1-line block ×3, first 2 shown]
	v_sub_co_u32_e32 v2, vcc, v2, v8
	v_subb_co_u32_e32 v3, vcc, v9, v8, vcc
.LBB9_7:
	s_andn2_saveexec_b64 s[0:1], s[2:3]
	s_cbranch_execz .LBB9_9
; %bb.8:
	v_cvt_f32_u32_e32 v2, s16
	s_sub_i32 s2, 0, s16
	v_rcp_iflag_f32_e32 v2, v2
	v_mul_f32_e32 v2, 0x4f7ffffe, v2
	v_cvt_u32_f32_e32 v2, v2
	v_mul_lo_u32 v3, s2, v2
	v_mul_hi_u32 v3, v2, v3
	v_add_u32_e32 v2, v2, v3
	v_mul_hi_u32 v2, v6, v2
	v_mul_lo_u32 v3, v2, s16
	v_add_u32_e32 v8, 1, v2
	v_sub_u32_e32 v3, v6, v3
	v_subrev_u32_e32 v9, s16, v3
	v_cmp_le_u32_e32 vcc, s16, v3
	v_cndmask_b32_e32 v3, v3, v9, vcc
	v_cndmask_b32_e32 v2, v2, v8, vcc
	v_add_u32_e32 v8, 1, v2
	v_cmp_le_u32_e32 vcc, s16, v3
	v_cndmask_b32_e32 v2, v2, v8, vcc
	v_mov_b32_e32 v3, 0
.LBB9_9:
	s_or_b64 exec, exec, s[0:1]
	v_mul_lo_u32 v11, s17, v2
	v_mul_lo_u32 v12, s16, v3
	v_mad_u64_u32 v[8:9], s[0:1], s16, v2, 0
	v_add3_u32 v9, v9, v12, v11
	v_sub_co_u32_e32 v12, vcc, v6, v8
	v_subb_co_u32_e32 v13, vcc, v7, v9, vcc
	v_or_b32_e32 v7, s15, v13
	v_mov_b32_e32 v6, 0
	v_cmp_ne_u64_e32 vcc, 0, v[6:7]
                                        ; implicit-def: $vgpr6_vgpr7
	s_and_saveexec_b64 s[0:1], vcc
	s_xor_b64 s[2:3], exec, s[0:1]
	s_cbranch_execz .LBB9_11
; %bb.10:
	s_ashr_i32 s6, s15, 31
	s_add_u32 s0, s14, s6
	s_mov_b32 s7, s6
	s_addc_u32 s1, s15, s6
	s_xor_b64 s[12:13], s[0:1], s[6:7]
	v_cvt_f32_u32_e32 v6, s12
	v_cvt_f32_u32_e32 v7, s13
	s_sub_u32 s7, 0, s12
	s_subb_u32 s16, 0, s13
	v_ashrrev_i32_e32 v11, 31, v13
	v_madmk_f32 v6, v7, 0x4f800000, v6
	v_rcp_f32_e32 v6, v6
	v_mul_f32_e32 v6, 0x5f7ffffc, v6
	v_mul_f32_e32 v7, 0x2f800000, v6
	v_trunc_f32_e32 v7, v7
	v_madmk_f32 v6, v7, 0xcf800000, v6
	v_cvt_u32_f32_e32 v7, v7
	v_cvt_u32_f32_e32 v6, v6
	v_readfirstlane_b32 s17, v7
	v_readfirstlane_b32 s0, v6
	s_mul_i32 s1, s7, s17
	s_mul_hi_u32 s19, s7, s0
	s_mul_i32 s18, s16, s0
	s_add_i32 s1, s19, s1
	s_add_i32 s1, s1, s18
	s_mul_i32 s24, s7, s0
	s_mul_i32 s19, s0, s1
	s_mul_hi_u32 s25, s0, s24
	s_mul_hi_u32 s18, s0, s1
	s_add_u32 s19, s25, s19
	s_addc_u32 s18, 0, s18
	s_mul_hi_u32 s26, s17, s24
	s_mul_i32 s24, s17, s24
	s_add_u32 s19, s19, s24
	s_mul_hi_u32 s25, s17, s1
	s_addc_u32 s18, s18, s26
	s_addc_u32 s19, s25, 0
	s_mul_i32 s1, s17, s1
	s_add_u32 s1, s18, s1
	s_addc_u32 s18, 0, s19
	s_add_u32 s19, s0, s1
	s_cselect_b64 s[0:1], -1, 0
	s_cmp_lg_u64 s[0:1], 0
	s_addc_u32 s17, s17, s18
	s_mul_i32 s0, s7, s17
	s_mul_hi_u32 s1, s7, s19
	s_add_i32 s0, s1, s0
	s_mul_i32 s16, s16, s19
	s_add_i32 s0, s0, s16
	s_mul_i32 s7, s7, s19
	s_mul_hi_u32 s16, s17, s7
	s_mul_i32 s18, s17, s7
	s_mul_i32 s25, s19, s0
	s_mul_hi_u32 s7, s19, s7
	s_mul_hi_u32 s24, s19, s0
	s_add_u32 s7, s7, s25
	s_addc_u32 s24, 0, s24
	s_add_u32 s7, s7, s18
	s_mul_hi_u32 s1, s17, s0
	s_addc_u32 s7, s24, s16
	s_addc_u32 s1, s1, 0
	s_mul_i32 s0, s17, s0
	s_add_u32 s0, s7, s0
	s_addc_u32 s7, 0, s1
	s_add_u32 s16, s19, s0
	s_cselect_b64 s[0:1], -1, 0
	s_cmp_lg_u64 s[0:1], 0
	v_add_co_u32_e32 v6, vcc, v12, v11
	s_addc_u32 s7, s17, s7
	v_xor_b32_e32 v14, v6, v11
	v_mad_u64_u32 v[6:7], s[0:1], v14, s7, 0
	v_mul_hi_u32 v9, v14, s16
	v_addc_co_u32_e32 v8, vcc, v13, v11, vcc
	v_xor_b32_e32 v15, v8, v11
	v_add_co_u32_e32 v16, vcc, v9, v6
	v_addc_co_u32_e32 v17, vcc, 0, v7, vcc
	v_mad_u64_u32 v[6:7], s[0:1], v15, s16, 0
	v_mad_u64_u32 v[8:9], s[0:1], v15, s7, 0
	v_add_co_u32_e32 v6, vcc, v16, v6
	v_addc_co_u32_e32 v6, vcc, v17, v7, vcc
	v_addc_co_u32_e32 v7, vcc, 0, v9, vcc
	v_add_co_u32_e32 v8, vcc, v6, v8
	v_addc_co_u32_e32 v9, vcc, 0, v7, vcc
	v_mul_lo_u32 v16, s13, v8
	v_mul_lo_u32 v17, s12, v9
	v_mad_u64_u32 v[6:7], s[0:1], s12, v8, 0
	v_add3_u32 v7, v7, v17, v16
	v_sub_u32_e32 v16, v15, v7
	v_mov_b32_e32 v17, s13
	v_sub_co_u32_e32 v6, vcc, v14, v6
	v_subb_co_u32_e64 v14, s[0:1], v16, v17, vcc
	v_subrev_co_u32_e64 v16, s[0:1], s12, v6
	v_subbrev_co_u32_e64 v14, s[0:1], 0, v14, s[0:1]
	v_cmp_le_u32_e64 s[0:1], s13, v14
	v_cndmask_b32_e64 v17, 0, -1, s[0:1]
	v_cmp_le_u32_e64 s[0:1], s12, v16
	v_cndmask_b32_e64 v16, 0, -1, s[0:1]
	v_cmp_eq_u32_e64 s[0:1], s13, v14
	v_cndmask_b32_e64 v14, v17, v16, s[0:1]
	v_add_co_u32_e64 v16, s[0:1], 2, v8
	v_subb_co_u32_e32 v7, vcc, v15, v7, vcc
	v_addc_co_u32_e64 v17, s[0:1], 0, v9, s[0:1]
	v_cmp_le_u32_e32 vcc, s13, v7
	v_add_co_u32_e64 v18, s[0:1], 1, v8
	v_cndmask_b32_e64 v15, 0, -1, vcc
	v_cmp_le_u32_e32 vcc, s12, v6
	v_addc_co_u32_e64 v19, s[0:1], 0, v9, s[0:1]
	v_cndmask_b32_e64 v6, 0, -1, vcc
	v_cmp_eq_u32_e32 vcc, s13, v7
	v_cmp_ne_u32_e64 s[0:1], 0, v14
	v_cndmask_b32_e32 v6, v15, v6, vcc
	v_cndmask_b32_e64 v14, v19, v17, s[0:1]
	v_cmp_ne_u32_e32 vcc, 0, v6
	v_cndmask_b32_e64 v7, v18, v16, s[0:1]
	v_cndmask_b32_e32 v6, v9, v14, vcc
	v_cndmask_b32_e32 v7, v8, v7, vcc
	v_xor_b32_e32 v8, s6, v11
	v_xor_b32_e32 v9, v6, v8
	;; [unrolled: 1-line block ×3, first 2 shown]
	v_sub_co_u32_e32 v6, vcc, v6, v8
	v_subb_co_u32_e32 v7, vcc, v9, v8, vcc
.LBB9_11:
	s_andn2_saveexec_b64 s[0:1], s[2:3]
	s_cbranch_execz .LBB9_13
; %bb.12:
	v_cvt_f32_u32_e32 v6, s14
	s_sub_i32 s2, 0, s14
	v_rcp_iflag_f32_e32 v6, v6
	v_mul_f32_e32 v6, 0x4f7ffffe, v6
	v_cvt_u32_f32_e32 v6, v6
	v_mul_lo_u32 v7, s2, v6
	v_mul_hi_u32 v7, v6, v7
	v_add_u32_e32 v6, v6, v7
	v_mul_hi_u32 v6, v12, v6
	v_mul_lo_u32 v7, v6, s14
	v_add_u32_e32 v8, 1, v6
	v_sub_u32_e32 v7, v12, v7
	v_subrev_u32_e32 v9, s14, v7
	v_cmp_le_u32_e32 vcc, s14, v7
	v_cndmask_b32_e32 v7, v7, v9, vcc
	v_cndmask_b32_e32 v6, v6, v8, vcc
	v_add_u32_e32 v8, 1, v6
	v_cmp_le_u32_e32 vcc, s14, v7
	v_cndmask_b32_e32 v6, v6, v8, vcc
	v_mov_b32_e32 v7, 0
.LBB9_13:
	s_or_b64 exec, exec, s[0:1]
	s_load_dwordx16 s[36:51], s[4:5], 0x40
	v_mov_b32_e32 v8, 0
	s_waitcnt lgkmcnt(0)
	s_mul_i32 s0, s42, s41
	s_mul_hi_u32 s1, s42, s40
	s_mul_i32 s2, s43, s40
	s_mul_i32 s16, s42, s40
	s_add_i32 s17, s1, s0
	s_mul_i32 s0, s16, s45
	s_add_i32 s17, s17, s2
	s_mul_hi_u32 s1, s16, s44
	s_add_i32 s0, s1, s0
	s_mul_i32 s1, s17, s44
	s_add_i32 s18, s0, s1
	v_or_b32_e32 v9, s18, v5
	v_cmp_ne_u64_e32 vcc, 0, v[8:9]
	s_mul_i32 s19, s16, s44
                                        ; implicit-def: $vgpr8_vgpr9
	s_and_saveexec_b64 s[0:1], vcc
	s_xor_b64 s[2:3], exec, s[0:1]
	s_cbranch_execz .LBB9_15
; %bb.14:
	s_ashr_i32 s6, s18, 31
	s_add_u32 s0, s19, s6
	s_mov_b32 s7, s6
	s_addc_u32 s1, s18, s6
	s_xor_b64 s[12:13], s[0:1], s[6:7]
	v_cvt_f32_u32_e32 v8, s12
	v_cvt_f32_u32_e32 v9, s13
	s_sub_u32 s7, 0, s12
	s_subb_u32 s24, 0, s13
	v_madmk_f32 v8, v9, 0x4f800000, v8
	v_rcp_f32_e32 v8, v8
	v_mul_f32_e32 v8, 0x5f7ffffc, v8
	v_mul_f32_e32 v9, 0x2f800000, v8
	v_trunc_f32_e32 v9, v9
	v_madmk_f32 v8, v9, 0xcf800000, v8
	v_cvt_u32_f32_e32 v9, v9
	v_cvt_u32_f32_e32 v8, v8
	v_readfirstlane_b32 s25, v9
	v_readfirstlane_b32 s0, v8
	s_mul_i32 s1, s7, s25
	s_mul_hi_u32 s27, s7, s0
	s_mul_i32 s26, s24, s0
	s_add_i32 s1, s27, s1
	s_add_i32 s1, s1, s26
	s_mul_i32 s28, s7, s0
	s_mul_i32 s27, s0, s1
	s_mul_hi_u32 s29, s0, s28
	s_mul_hi_u32 s26, s0, s1
	s_add_u32 s27, s29, s27
	s_addc_u32 s26, 0, s26
	s_mul_hi_u32 s30, s25, s28
	s_mul_i32 s28, s25, s28
	s_add_u32 s27, s27, s28
	s_mul_hi_u32 s29, s25, s1
	s_addc_u32 s26, s26, s30
	s_addc_u32 s27, s29, 0
	s_mul_i32 s1, s25, s1
	s_add_u32 s1, s26, s1
	s_addc_u32 s26, 0, s27
	s_add_u32 s27, s0, s1
	s_cselect_b64 s[0:1], -1, 0
	s_cmp_lg_u64 s[0:1], 0
	s_addc_u32 s25, s25, s26
	s_mul_i32 s0, s7, s25
	s_mul_hi_u32 s1, s7, s27
	s_add_i32 s0, s1, s0
	s_mul_i32 s24, s24, s27
	s_add_i32 s0, s0, s24
	s_mul_i32 s7, s7, s27
	s_mul_hi_u32 s24, s25, s7
	s_mul_i32 s26, s25, s7
	s_mul_i32 s29, s27, s0
	s_mul_hi_u32 s7, s27, s7
	s_mul_hi_u32 s28, s27, s0
	s_add_u32 s7, s7, s29
	s_addc_u32 s28, 0, s28
	s_add_u32 s7, s7, s26
	s_mul_hi_u32 s1, s25, s0
	s_addc_u32 s7, s28, s24
	s_addc_u32 s1, s1, 0
	s_mul_i32 s0, s25, s0
	s_add_u32 s0, s7, s0
	s_addc_u32 s7, 0, s1
	s_add_u32 s24, s27, s0
	s_cselect_b64 s[0:1], -1, 0
	s_cmp_lg_u64 s[0:1], 0
	v_add_co_u32_e32 v8, vcc, v4, v10
	s_addc_u32 s7, s25, s7
	v_xor_b32_e32 v16, v8, v10
	v_mad_u64_u32 v[8:9], s[0:1], v16, s7, 0
	v_mul_hi_u32 v14, v16, s24
	v_addc_co_u32_e32 v11, vcc, v5, v10, vcc
	v_xor_b32_e32 v11, v11, v10
	v_add_co_u32_e32 v17, vcc, v14, v8
	v_addc_co_u32_e32 v18, vcc, 0, v9, vcc
	v_mad_u64_u32 v[8:9], s[0:1], v11, s24, 0
	v_mad_u64_u32 v[14:15], s[0:1], v11, s7, 0
	v_add_co_u32_e32 v8, vcc, v17, v8
	v_addc_co_u32_e32 v8, vcc, v18, v9, vcc
	v_addc_co_u32_e32 v9, vcc, 0, v15, vcc
	v_add_co_u32_e32 v14, vcc, v8, v14
	v_addc_co_u32_e32 v15, vcc, 0, v9, vcc
	v_mul_lo_u32 v17, s13, v14
	v_mul_lo_u32 v18, s12, v15
	v_mad_u64_u32 v[8:9], s[0:1], s12, v14, 0
	v_xor_b32_e32 v10, s6, v10
	v_add3_u32 v9, v9, v18, v17
	v_sub_u32_e32 v17, v11, v9
	v_mov_b32_e32 v18, s13
	v_sub_co_u32_e32 v8, vcc, v16, v8
	v_subb_co_u32_e64 v16, s[0:1], v17, v18, vcc
	v_subrev_co_u32_e64 v17, s[0:1], s12, v8
	v_subbrev_co_u32_e64 v16, s[0:1], 0, v16, s[0:1]
	v_cmp_le_u32_e64 s[0:1], s13, v16
	v_cndmask_b32_e64 v18, 0, -1, s[0:1]
	v_cmp_le_u32_e64 s[0:1], s12, v17
	v_cndmask_b32_e64 v17, 0, -1, s[0:1]
	v_cmp_eq_u32_e64 s[0:1], s13, v16
	v_cndmask_b32_e64 v16, v18, v17, s[0:1]
	v_add_co_u32_e64 v17, s[0:1], 2, v14
	v_subb_co_u32_e32 v9, vcc, v11, v9, vcc
	v_addc_co_u32_e64 v18, s[0:1], 0, v15, s[0:1]
	v_cmp_le_u32_e32 vcc, s13, v9
	v_add_co_u32_e64 v19, s[0:1], 1, v14
	v_cndmask_b32_e64 v11, 0, -1, vcc
	v_cmp_le_u32_e32 vcc, s12, v8
	v_addc_co_u32_e64 v20, s[0:1], 0, v15, s[0:1]
	v_cndmask_b32_e64 v8, 0, -1, vcc
	v_cmp_eq_u32_e32 vcc, s13, v9
	v_cmp_ne_u32_e64 s[0:1], 0, v16
	v_cndmask_b32_e32 v8, v11, v8, vcc
	v_cndmask_b32_e64 v16, v20, v18, s[0:1]
	v_cmp_ne_u32_e32 vcc, 0, v8
	v_cndmask_b32_e64 v9, v19, v17, s[0:1]
	v_cndmask_b32_e32 v8, v15, v16, vcc
	v_cndmask_b32_e32 v9, v14, v9, vcc
	v_xor_b32_e32 v11, v8, v10
	v_xor_b32_e32 v8, v9, v10
	v_sub_co_u32_e32 v8, vcc, v8, v10
	v_subb_co_u32_e32 v9, vcc, v11, v10, vcc
.LBB9_15:
	s_andn2_saveexec_b64 s[0:1], s[2:3]
	s_cbranch_execz .LBB9_17
; %bb.16:
	v_cvt_f32_u32_e32 v8, s19
	s_sub_i32 s2, 0, s19
	v_rcp_iflag_f32_e32 v8, v8
	v_mul_f32_e32 v8, 0x4f7ffffe, v8
	v_cvt_u32_f32_e32 v8, v8
	v_mul_lo_u32 v9, s2, v8
	v_mul_hi_u32 v9, v8, v9
	v_add_u32_e32 v8, v8, v9
	v_mul_hi_u32 v8, v4, v8
	v_mul_lo_u32 v9, v8, s19
	v_add_u32_e32 v10, 1, v8
	v_sub_u32_e32 v9, v4, v9
	v_subrev_u32_e32 v11, s19, v9
	v_cmp_le_u32_e32 vcc, s19, v9
	v_cndmask_b32_e32 v9, v9, v11, vcc
	v_cndmask_b32_e32 v8, v8, v10, vcc
	v_add_u32_e32 v10, 1, v8
	v_cmp_le_u32_e32 vcc, s19, v9
	v_cndmask_b32_e32 v8, v8, v10, vcc
	v_mov_b32_e32 v9, 0
.LBB9_17:
	s_or_b64 exec, exec, s[0:1]
	v_mul_lo_u32 v14, s18, v8
	v_mul_lo_u32 v15, s19, v9
	v_mad_u64_u32 v[10:11], s[0:1], s19, v8, 0
	v_add3_u32 v11, v11, v15, v14
	v_sub_co_u32_e32 v10, vcc, v4, v10
	v_subb_co_u32_e32 v11, vcc, v5, v11, vcc
	v_or_b32_e32 v5, s17, v11
	v_mov_b32_e32 v4, 0
	v_cmp_ne_u64_e32 vcc, 0, v[4:5]
                                        ; implicit-def: $vgpr4_vgpr5
	s_and_saveexec_b64 s[0:1], vcc
	s_xor_b64 s[2:3], exec, s[0:1]
	s_cbranch_execz .LBB9_19
; %bb.18:
	s_ashr_i32 s6, s17, 31
	s_add_u32 s0, s16, s6
	s_mov_b32 s7, s6
	s_addc_u32 s1, s17, s6
	s_xor_b64 s[12:13], s[0:1], s[6:7]
	v_cvt_f32_u32_e32 v4, s12
	v_cvt_f32_u32_e32 v5, s13
	s_sub_u32 s7, 0, s12
	s_subb_u32 s18, 0, s13
	v_ashrrev_i32_e32 v16, 31, v11
	v_madmk_f32 v4, v5, 0x4f800000, v4
	v_rcp_f32_e32 v4, v4
	v_mul_f32_e32 v4, 0x5f7ffffc, v4
	v_mul_f32_e32 v5, 0x2f800000, v4
	v_trunc_f32_e32 v5, v5
	v_madmk_f32 v4, v5, 0xcf800000, v4
	v_cvt_u32_f32_e32 v5, v5
	v_cvt_u32_f32_e32 v4, v4
	v_readfirstlane_b32 s19, v5
	v_readfirstlane_b32 s0, v4
	s_mul_i32 s1, s7, s19
	s_mul_hi_u32 s25, s7, s0
	s_mul_i32 s24, s18, s0
	s_add_i32 s1, s25, s1
	s_add_i32 s1, s1, s24
	s_mul_i32 s26, s7, s0
	s_mul_i32 s25, s0, s1
	s_mul_hi_u32 s27, s0, s26
	s_mul_hi_u32 s24, s0, s1
	s_add_u32 s25, s27, s25
	s_addc_u32 s24, 0, s24
	s_mul_hi_u32 s28, s19, s26
	s_mul_i32 s26, s19, s26
	s_add_u32 s25, s25, s26
	s_mul_hi_u32 s27, s19, s1
	s_addc_u32 s24, s24, s28
	s_addc_u32 s25, s27, 0
	s_mul_i32 s1, s19, s1
	s_add_u32 s1, s24, s1
	s_addc_u32 s24, 0, s25
	s_add_u32 s25, s0, s1
	s_cselect_b64 s[0:1], -1, 0
	s_cmp_lg_u64 s[0:1], 0
	s_addc_u32 s19, s19, s24
	s_mul_i32 s0, s7, s19
	s_mul_hi_u32 s1, s7, s25
	s_add_i32 s0, s1, s0
	s_mul_i32 s18, s18, s25
	s_add_i32 s0, s0, s18
	s_mul_i32 s7, s7, s25
	s_mul_hi_u32 s18, s19, s7
	s_mul_i32 s24, s19, s7
	s_mul_i32 s27, s25, s0
	s_mul_hi_u32 s7, s25, s7
	s_mul_hi_u32 s26, s25, s0
	s_add_u32 s7, s7, s27
	s_addc_u32 s26, 0, s26
	s_add_u32 s7, s7, s24
	s_mul_hi_u32 s1, s19, s0
	s_addc_u32 s7, s26, s18
	s_addc_u32 s1, s1, 0
	s_mul_i32 s0, s19, s0
	s_add_u32 s0, s7, s0
	s_addc_u32 s7, 0, s1
	s_add_u32 s18, s25, s0
	s_cselect_b64 s[0:1], -1, 0
	s_cmp_lg_u64 s[0:1], 0
	v_add_co_u32_e32 v4, vcc, v10, v16
	s_addc_u32 s7, s19, s7
	v_xor_b32_e32 v17, v4, v16
	v_mad_u64_u32 v[4:5], s[0:1], v17, s7, 0
	v_mul_hi_u32 v15, v17, s18
	v_addc_co_u32_e32 v14, vcc, v11, v16, vcc
	v_xor_b32_e32 v18, v14, v16
	v_add_co_u32_e32 v19, vcc, v15, v4
	v_addc_co_u32_e32 v20, vcc, 0, v5, vcc
	v_mad_u64_u32 v[4:5], s[0:1], v18, s18, 0
	v_mad_u64_u32 v[14:15], s[0:1], v18, s7, 0
	v_add_co_u32_e32 v4, vcc, v19, v4
	v_addc_co_u32_e32 v4, vcc, v20, v5, vcc
	v_addc_co_u32_e32 v5, vcc, 0, v15, vcc
	v_add_co_u32_e32 v14, vcc, v4, v14
	v_addc_co_u32_e32 v15, vcc, 0, v5, vcc
	v_mul_lo_u32 v19, s13, v14
	v_mul_lo_u32 v20, s12, v15
	v_mad_u64_u32 v[4:5], s[0:1], s12, v14, 0
	v_add3_u32 v5, v5, v20, v19
	v_sub_u32_e32 v19, v18, v5
	v_mov_b32_e32 v20, s13
	v_sub_co_u32_e32 v4, vcc, v17, v4
	v_subb_co_u32_e64 v17, s[0:1], v19, v20, vcc
	v_subrev_co_u32_e64 v19, s[0:1], s12, v4
	v_subbrev_co_u32_e64 v17, s[0:1], 0, v17, s[0:1]
	v_cmp_le_u32_e64 s[0:1], s13, v17
	v_cndmask_b32_e64 v20, 0, -1, s[0:1]
	v_cmp_le_u32_e64 s[0:1], s12, v19
	v_cndmask_b32_e64 v19, 0, -1, s[0:1]
	v_cmp_eq_u32_e64 s[0:1], s13, v17
	v_cndmask_b32_e64 v17, v20, v19, s[0:1]
	v_add_co_u32_e64 v19, s[0:1], 2, v14
	v_subb_co_u32_e32 v5, vcc, v18, v5, vcc
	v_addc_co_u32_e64 v20, s[0:1], 0, v15, s[0:1]
	v_cmp_le_u32_e32 vcc, s13, v5
	v_add_co_u32_e64 v21, s[0:1], 1, v14
	v_cndmask_b32_e64 v18, 0, -1, vcc
	v_cmp_le_u32_e32 vcc, s12, v4
	v_addc_co_u32_e64 v22, s[0:1], 0, v15, s[0:1]
	v_cndmask_b32_e64 v4, 0, -1, vcc
	v_cmp_eq_u32_e32 vcc, s13, v5
	v_cmp_ne_u32_e64 s[0:1], 0, v17
	v_cndmask_b32_e32 v4, v18, v4, vcc
	v_cndmask_b32_e64 v17, v22, v20, s[0:1]
	v_cmp_ne_u32_e32 vcc, 0, v4
	v_cndmask_b32_e64 v5, v21, v19, s[0:1]
	v_cndmask_b32_e32 v4, v15, v17, vcc
	v_cndmask_b32_e32 v5, v14, v5, vcc
	v_xor_b32_e32 v14, s6, v16
	v_xor_b32_e32 v15, v4, v14
	;; [unrolled: 1-line block ×3, first 2 shown]
	v_sub_co_u32_e32 v4, vcc, v4, v14
	v_subb_co_u32_e32 v5, vcc, v15, v14, vcc
.LBB9_19:
	s_andn2_saveexec_b64 s[0:1], s[2:3]
	s_cbranch_execz .LBB9_21
; %bb.20:
	v_cvt_f32_u32_e32 v4, s16
	s_sub_i32 s2, 0, s16
	v_rcp_iflag_f32_e32 v4, v4
	v_mul_f32_e32 v4, 0x4f7ffffe, v4
	v_cvt_u32_f32_e32 v4, v4
	v_mul_lo_u32 v5, s2, v4
	v_mul_hi_u32 v5, v4, v5
	v_add_u32_e32 v4, v4, v5
	v_mul_hi_u32 v4, v10, v4
	v_mul_lo_u32 v5, v4, s16
	v_add_u32_e32 v14, 1, v4
	v_sub_u32_e32 v5, v10, v5
	v_subrev_u32_e32 v15, s16, v5
	v_cmp_le_u32_e32 vcc, s16, v5
	v_cndmask_b32_e32 v5, v5, v15, vcc
	v_cndmask_b32_e32 v4, v4, v14, vcc
	v_add_u32_e32 v14, 1, v4
	v_cmp_le_u32_e32 vcc, s16, v5
	v_cndmask_b32_e32 v4, v4, v14, vcc
	v_mov_b32_e32 v5, 0
.LBB9_21:
	s_or_b64 exec, exec, s[0:1]
	v_mul_lo_u32 v16, s17, v4
	v_mul_lo_u32 v17, s16, v5
	v_mad_u64_u32 v[14:15], s[0:1], s16, v4, 0
	v_add3_u32 v15, v15, v17, v16
	v_sub_co_u32_e32 v14, vcc, v10, v14
	v_subb_co_u32_e32 v15, vcc, v11, v15, vcc
	v_or_b32_e32 v11, s41, v15
	v_mov_b32_e32 v10, 0
	v_cmp_ne_u64_e32 vcc, 0, v[10:11]
                                        ; implicit-def: $vgpr10_vgpr11
	s_and_saveexec_b64 s[0:1], vcc
	s_xor_b64 s[2:3], exec, s[0:1]
	s_cbranch_execz .LBB9_23
; %bb.22:
	s_ashr_i32 s6, s41, 31
	s_add_u32 s0, s40, s6
	s_mov_b32 s7, s6
	s_addc_u32 s1, s41, s6
	s_xor_b64 s[12:13], s[0:1], s[6:7]
	v_cvt_f32_u32_e32 v10, s12
	v_cvt_f32_u32_e32 v11, s13
	s_sub_u32 s7, 0, s12
	s_subb_u32 s16, 0, s13
	v_ashrrev_i32_e32 v18, 31, v15
	v_madmk_f32 v10, v11, 0x4f800000, v10
	v_rcp_f32_e32 v10, v10
	v_mul_f32_e32 v10, 0x5f7ffffc, v10
	v_mul_f32_e32 v11, 0x2f800000, v10
	v_trunc_f32_e32 v11, v11
	v_madmk_f32 v10, v11, 0xcf800000, v10
	v_cvt_u32_f32_e32 v11, v11
	v_cvt_u32_f32_e32 v10, v10
	v_readfirstlane_b32 s17, v11
	v_readfirstlane_b32 s0, v10
	s_mul_i32 s1, s7, s17
	s_mul_hi_u32 s19, s7, s0
	s_mul_i32 s18, s16, s0
	s_add_i32 s1, s19, s1
	s_add_i32 s1, s1, s18
	s_mul_i32 s24, s7, s0
	s_mul_i32 s19, s0, s1
	s_mul_hi_u32 s25, s0, s24
	s_mul_hi_u32 s18, s0, s1
	s_add_u32 s19, s25, s19
	s_addc_u32 s18, 0, s18
	s_mul_hi_u32 s26, s17, s24
	s_mul_i32 s24, s17, s24
	s_add_u32 s19, s19, s24
	s_mul_hi_u32 s25, s17, s1
	s_addc_u32 s18, s18, s26
	s_addc_u32 s19, s25, 0
	s_mul_i32 s1, s17, s1
	s_add_u32 s1, s18, s1
	s_addc_u32 s18, 0, s19
	s_add_u32 s19, s0, s1
	s_cselect_b64 s[0:1], -1, 0
	s_cmp_lg_u64 s[0:1], 0
	s_addc_u32 s17, s17, s18
	s_mul_i32 s0, s7, s17
	s_mul_hi_u32 s1, s7, s19
	s_add_i32 s0, s1, s0
	s_mul_i32 s16, s16, s19
	s_add_i32 s0, s0, s16
	s_mul_i32 s7, s7, s19
	s_mul_hi_u32 s16, s17, s7
	s_mul_i32 s18, s17, s7
	s_mul_i32 s25, s19, s0
	s_mul_hi_u32 s7, s19, s7
	s_mul_hi_u32 s24, s19, s0
	s_add_u32 s7, s7, s25
	s_addc_u32 s24, 0, s24
	s_add_u32 s7, s7, s18
	s_mul_hi_u32 s1, s17, s0
	s_addc_u32 s7, s24, s16
	s_addc_u32 s1, s1, 0
	s_mul_i32 s0, s17, s0
	s_add_u32 s0, s7, s0
	s_addc_u32 s7, 0, s1
	s_add_u32 s16, s19, s0
	s_cselect_b64 s[0:1], -1, 0
	s_cmp_lg_u64 s[0:1], 0
	v_add_co_u32_e32 v10, vcc, v14, v18
	s_addc_u32 s7, s17, s7
	v_xor_b32_e32 v19, v10, v18
	v_mad_u64_u32 v[10:11], s[0:1], v19, s7, 0
	v_mul_hi_u32 v17, v19, s16
	v_addc_co_u32_e32 v16, vcc, v15, v18, vcc
	v_xor_b32_e32 v20, v16, v18
	v_add_co_u32_e32 v21, vcc, v17, v10
	v_addc_co_u32_e32 v22, vcc, 0, v11, vcc
	v_mad_u64_u32 v[10:11], s[0:1], v20, s16, 0
	v_mad_u64_u32 v[16:17], s[0:1], v20, s7, 0
	v_add_co_u32_e32 v10, vcc, v21, v10
	v_addc_co_u32_e32 v10, vcc, v22, v11, vcc
	v_addc_co_u32_e32 v11, vcc, 0, v17, vcc
	v_add_co_u32_e32 v16, vcc, v10, v16
	v_addc_co_u32_e32 v17, vcc, 0, v11, vcc
	v_mul_lo_u32 v21, s13, v16
	v_mul_lo_u32 v22, s12, v17
	v_mad_u64_u32 v[10:11], s[0:1], s12, v16, 0
	v_add3_u32 v11, v11, v22, v21
	v_sub_u32_e32 v21, v20, v11
	v_mov_b32_e32 v22, s13
	v_sub_co_u32_e32 v10, vcc, v19, v10
	v_subb_co_u32_e64 v19, s[0:1], v21, v22, vcc
	v_subrev_co_u32_e64 v21, s[0:1], s12, v10
	v_subbrev_co_u32_e64 v19, s[0:1], 0, v19, s[0:1]
	v_cmp_le_u32_e64 s[0:1], s13, v19
	v_cndmask_b32_e64 v22, 0, -1, s[0:1]
	v_cmp_le_u32_e64 s[0:1], s12, v21
	v_cndmask_b32_e64 v21, 0, -1, s[0:1]
	v_cmp_eq_u32_e64 s[0:1], s13, v19
	v_cndmask_b32_e64 v19, v22, v21, s[0:1]
	v_add_co_u32_e64 v21, s[0:1], 2, v16
	v_subb_co_u32_e32 v11, vcc, v20, v11, vcc
	v_addc_co_u32_e64 v22, s[0:1], 0, v17, s[0:1]
	v_cmp_le_u32_e32 vcc, s13, v11
	v_add_co_u32_e64 v23, s[0:1], 1, v16
	v_cndmask_b32_e64 v20, 0, -1, vcc
	v_cmp_le_u32_e32 vcc, s12, v10
	v_addc_co_u32_e64 v24, s[0:1], 0, v17, s[0:1]
	v_cndmask_b32_e64 v10, 0, -1, vcc
	v_cmp_eq_u32_e32 vcc, s13, v11
	v_cmp_ne_u32_e64 s[0:1], 0, v19
	v_cndmask_b32_e32 v10, v20, v10, vcc
	v_cndmask_b32_e64 v19, v24, v22, s[0:1]
	v_cmp_ne_u32_e32 vcc, 0, v10
	v_cndmask_b32_e64 v11, v23, v21, s[0:1]
	v_cndmask_b32_e32 v10, v17, v19, vcc
	v_cndmask_b32_e32 v11, v16, v11, vcc
	v_xor_b32_e32 v16, s6, v18
	v_xor_b32_e32 v17, v10, v16
	;; [unrolled: 1-line block ×3, first 2 shown]
	v_sub_co_u32_e32 v10, vcc, v10, v16
	v_subb_co_u32_e32 v11, vcc, v17, v16, vcc
.LBB9_23:
	s_andn2_saveexec_b64 s[0:1], s[2:3]
	s_cbranch_execz .LBB9_25
; %bb.24:
	v_cvt_f32_u32_e32 v10, s40
	s_sub_i32 s2, 0, s40
	v_rcp_iflag_f32_e32 v10, v10
	v_mul_f32_e32 v10, 0x4f7ffffe, v10
	v_cvt_u32_f32_e32 v10, v10
	v_mul_lo_u32 v11, s2, v10
	v_mul_hi_u32 v11, v10, v11
	v_add_u32_e32 v10, v10, v11
	v_mul_hi_u32 v10, v14, v10
	v_mul_lo_u32 v11, v10, s40
	v_add_u32_e32 v16, 1, v10
	v_sub_u32_e32 v11, v14, v11
	v_subrev_u32_e32 v17, s40, v11
	v_cmp_le_u32_e32 vcc, s40, v11
	v_cndmask_b32_e32 v11, v11, v17, vcc
	v_cndmask_b32_e32 v10, v10, v16, vcc
	v_add_u32_e32 v16, 1, v10
	v_cmp_le_u32_e32 vcc, s40, v11
	v_cndmask_b32_e32 v10, v10, v16, vcc
	v_mov_b32_e32 v11, 0
.LBB9_25:
	s_or_b64 exec, exec, s[0:1]
	v_mul_lo_u32 v18, v7, s14
	v_mul_lo_u32 v19, v6, s15
	v_mad_u64_u32 v[16:17], s[0:1], v6, s14, 0
	v_mul_lo_u32 v7, v7, s22
	v_mul_lo_u32 v3, v3, s36
	v_add3_u32 v17, v17, v19, v18
	v_sub_co_u32_e32 v12, vcc, v12, v16
	v_subb_co_u32_e32 v13, vcc, v13, v17, vcc
	v_ashrrev_i32_e32 v16, 31, v13
	v_lshrrev_b32_e32 v16, 27, v16
	v_add_co_u32_e32 v12, vcc, v12, v16
	v_addc_co_u32_e32 v13, vcc, 0, v13, vcc
	v_ashrrev_i64 v[12:13], 5, v[12:13]
	v_mov_b32_e32 v16, s8
	v_mov_b32_e32 v17, s9
	v_mul_lo_u32 v18, v12, s21
	v_mul_lo_u32 v19, v13, s20
	v_mad_u64_u32 v[12:13], s[0:1], v12, s20, v[16:17]
	v_mul_lo_u32 v1, v1, s38
	v_mul_lo_u32 v17, v11, s40
	v_add3_u32 v13, v19, v13, v18
	v_mad_u64_u32 v[12:13], s[0:1], v6, s22, v[12:13]
	v_mul_lo_u32 v6, v6, s23
	v_mul_lo_u32 v18, v10, s41
	;; [unrolled: 1-line block ×4, first 2 shown]
	v_add3_u32 v13, v7, v13, v6
	v_mad_u64_u32 v[6:7], s[0:1], v2, s36, v[12:13]
	v_mul_lo_u32 v2, v2, s37
	v_add3_u32 v7, v3, v7, v2
	v_mad_u64_u32 v[2:3], s[0:1], v0, s38, v[6:7]
	v_mul_lo_u32 v0, v0, s39
	v_mov_b32_e32 v6, s10
	v_mov_b32_e32 v7, s11
	v_add3_u32 v3, v1, v3, v0
	global_load_dword v12, v[2:3], off offset:4
	global_load_ubyte v13, v[2:3], off offset:8
	global_load_dword v16, v[2:3], off
	v_mad_u64_u32 v[0:1], s[0:1], v10, s40, 0
	v_add3_u32 v1, v1, v18, v17
	v_sub_co_u32_e32 v0, vcc, v14, v0
	v_subb_co_u32_e32 v14, vcc, v15, v1, vcc
	v_mul_lo_u32 v15, v0, s47
	v_mad_u64_u32 v[0:1], s[0:1], v0, s46, v[6:7]
	v_mul_lo_u32 v6, v14, s46
	v_mul_lo_u32 v7, v10, s49
	v_add3_u32 v1, v6, v1, v15
	v_mad_u64_u32 v[0:1], s[0:1], v10, s48, v[0:1]
	s_load_dwordx2 s[0:1], s[4:5], 0x80
	v_mul_lo_u32 v6, v4, s51
	v_add3_u32 v1, v11, v1, v7
	v_mad_u64_u32 v[0:1], s[2:3], v4, s50, v[0:1]
	s_waitcnt lgkmcnt(0)
	v_mul_lo_u32 v4, v8, s1
	v_mul_lo_u32 v7, v9, s0
	v_add3_u32 v1, v5, v1, v6
	v_mad_u64_u32 v[0:1], s[0:1], v8, s0, v[0:1]
	v_mov_b32_e32 v5, 4
	v_add3_u32 v1, v7, v1, v4
	s_waitcnt vmcnt(2)
	v_lshlrev_b32_sdwa v4, v5, v12 dst_sel:DWORD dst_unused:UNUSED_PAD src0_sel:DWORD src1_sel:WORD_1
	v_lshlrev_b32_e32 v5, 4, v12
	s_waitcnt vmcnt(1)
	v_and_b32_e32 v6, 15, v13
	v_lshrrev_b16_e32 v7, 4, v13
	v_and_or_b32 v5, v5, 16, v6
	v_and_or_b32 v4, v4, 16, v7
	v_cvt_f32_ubyte0_e32 v5, v5
	v_cvt_f32_ubyte0_e32 v4, v4
	s_waitcnt vmcnt(0)
	v_fma_mix_f32 v5, v16, v5, v16 op_sel:[0,0,1] op_sel_hi:[1,0,1]
	v_fma_mix_f32 v4, v16, v4, v16 op_sel:[0,0,1] op_sel_hi:[1,0,1]
	global_store_dword v[0:1], v5, off
	global_store_dword v[0:1], v4, off offset:64
	global_load_dword v4, v[2:3], off offset:4
	s_nop 0
	global_load_ubyte v5, v[2:3], off offset:9
	global_load_dword v6, v[2:3], off
	v_mov_b32_e32 v7, 3
	s_waitcnt vmcnt(2)
	v_lshlrev_b32_sdwa v7, v7, v4 dst_sel:DWORD dst_unused:UNUSED_PAD src0_sel:DWORD src1_sel:WORD_1
	v_lshlrev_b32_e32 v4, 3, v4
	s_waitcnt vmcnt(1)
	v_and_b32_e32 v8, 15, v5
	v_lshrrev_b16_e32 v5, 4, v5
	v_and_or_b32 v4, v4, 16, v8
	v_and_or_b32 v5, v7, 16, v5
	v_cvt_f32_ubyte0_e32 v4, v4
	v_cvt_f32_ubyte0_e32 v5, v5
	s_waitcnt vmcnt(0)
	v_fma_mix_f32 v4, v6, v4, v6 op_sel:[0,0,1] op_sel_hi:[1,0,1]
	v_fma_mix_f32 v5, v6, v5, v6 op_sel:[0,0,1] op_sel_hi:[1,0,1]
	global_store_dword v[0:1], v4, off offset:4
	global_store_dword v[0:1], v5, off offset:68
	global_load_dword v4, v[2:3], off offset:4
	s_nop 0
	global_load_ubyte v5, v[2:3], off offset:10
	global_load_dword v6, v[2:3], off
	v_mov_b32_e32 v7, 2
	s_waitcnt vmcnt(2)
	v_lshlrev_b32_sdwa v7, v7, v4 dst_sel:DWORD dst_unused:UNUSED_PAD src0_sel:DWORD src1_sel:WORD_1
	v_lshlrev_b32_e32 v4, 2, v4
	s_waitcnt vmcnt(1)
	v_and_b32_e32 v8, 15, v5
	v_lshrrev_b16_e32 v5, 4, v5
	v_and_or_b32 v4, v4, 16, v8
	v_and_or_b32 v5, v7, 16, v5
	v_cvt_f32_ubyte0_e32 v4, v4
	v_cvt_f32_ubyte0_e32 v5, v5
	s_waitcnt vmcnt(0)
	v_fma_mix_f32 v4, v6, v4, v6 op_sel:[0,0,1] op_sel_hi:[1,0,1]
	v_fma_mix_f32 v5, v6, v5, v6 op_sel:[0,0,1] op_sel_hi:[1,0,1]
	global_store_dword v[0:1], v4, off offset:8
	;; [unrolled: 20-line block ×3, first 2 shown]
	global_store_dword v[0:1], v5, off offset:76
	global_load_dword v5, v[2:3], off offset:4
	s_nop 0
	global_load_ubyte v6, v[2:3], off offset:12
	global_load_dword v7, v[2:3], off
	v_mov_b32_e32 v4, 16
	s_waitcnt vmcnt(2)
	v_and_b32_e32 v8, 16, v5
	s_waitcnt vmcnt(1)
	v_and_b32_e32 v9, 15, v6
	v_and_b32_sdwa v5, v5, v4 dst_sel:DWORD dst_unused:UNUSED_PAD src0_sel:WORD_1 src1_sel:DWORD
	v_lshrrev_b16_e32 v6, 4, v6
	v_or_b32_e32 v8, v8, v9
	v_or_b32_e32 v5, v5, v6
	v_cvt_f32_ubyte0_e32 v6, v8
	v_cvt_f32_ubyte0_e32 v5, v5
	s_waitcnt vmcnt(0)
	v_fma_mix_f32 v6, v7, v6, v7 op_sel:[0,0,1] op_sel_hi:[1,0,1]
	v_fma_mix_f32 v5, v7, v5, v7 op_sel:[0,0,1] op_sel_hi:[1,0,1]
	global_store_dword v[0:1], v6, off offset:16
	global_store_dword v[0:1], v5, off offset:80
	global_load_dword v5, v[2:3], off offset:4
	s_nop 0
	global_load_ubyte v6, v[2:3], off offset:13
	global_load_dword v7, v[2:3], off
	s_waitcnt vmcnt(2)
	v_lshrrev_b16_e32 v8, 1, v5
	v_lshrrev_b32_e32 v5, 17, v5
	s_waitcnt vmcnt(1)
	v_and_b32_e32 v9, 15, v6
	v_and_b32_e32 v8, 16, v8
	v_lshrrev_b16_e32 v6, 4, v6
	v_and_b32_e32 v5, 16, v5
	v_or_b32_e32 v8, v8, v9
	v_or_b32_e32 v5, v5, v6
	v_cvt_f32_ubyte0_e32 v6, v8
	v_cvt_f32_ubyte0_e32 v5, v5
	s_waitcnt vmcnt(0)
	v_fma_mix_f32 v6, v7, v6, v7 op_sel:[0,0,1] op_sel_hi:[1,0,1]
	v_fma_mix_f32 v5, v7, v5, v7 op_sel:[0,0,1] op_sel_hi:[1,0,1]
	global_store_dword v[0:1], v6, off offset:20
	global_store_dword v[0:1], v5, off offset:84
	global_load_dword v5, v[2:3], off offset:4
	s_nop 0
	global_load_ubyte v6, v[2:3], off offset:14
	global_load_dword v7, v[2:3], off
	s_waitcnt vmcnt(2)
	v_lshrrev_b16_e32 v8, 2, v5
	v_lshrrev_b32_e32 v5, 18, v5
	s_waitcnt vmcnt(1)
	v_and_b32_e32 v9, 15, v6
	v_and_b32_e32 v8, 16, v8
	v_lshrrev_b16_e32 v6, 4, v6
	v_and_b32_e32 v5, 16, v5
	;; [unrolled: 21-line block ×7, first 2 shown]
	v_or_b32_e32 v8, v8, v9
	v_or_b32_e32 v5, v5, v6
	v_cvt_f32_ubyte0_e32 v6, v8
	v_cvt_f32_ubyte0_e32 v5, v5
	s_waitcnt vmcnt(0)
	v_fma_mix_f32 v6, v7, v6, v7 op_sel:[0,0,1] op_sel_hi:[1,0,1]
	v_fma_mix_f32 v5, v7, v5, v7 op_sel:[0,0,1] op_sel_hi:[1,0,1]
	global_store_dword v[0:1], v6, off offset:44
	global_store_dword v[0:1], v5, off offset:108
	global_load_dword v5, v[2:3], off offset:4
	s_nop 0
	global_load_ubyte v6, v[2:3], off offset:20
	global_load_dword v7, v[2:3], off
	s_waitcnt vmcnt(2)
	v_and_b32_sdwa v8, v5, v4 dst_sel:DWORD dst_unused:UNUSED_PAD src0_sel:BYTE_1 src1_sel:DWORD
	v_and_b32_sdwa v4, v5, v4 dst_sel:DWORD dst_unused:UNUSED_PAD src0_sel:BYTE_3 src1_sel:DWORD
	s_waitcnt vmcnt(1)
	v_and_b32_e32 v5, 15, v6
	v_lshrrev_b16_e32 v6, 4, v6
	v_or_b32_e32 v5, v8, v5
	v_or_b32_e32 v4, v4, v6
	v_cvt_f32_ubyte0_e32 v5, v5
	v_cvt_f32_ubyte0_e32 v4, v4
	s_waitcnt vmcnt(0)
	v_fma_mix_f32 v5, v7, v5, v7 op_sel:[0,0,1] op_sel_hi:[1,0,1]
	v_fma_mix_f32 v4, v7, v4, v7 op_sel:[0,0,1] op_sel_hi:[1,0,1]
	global_store_dword v[0:1], v5, off offset:48
	global_store_dword v[0:1], v4, off offset:112
	global_load_dword v4, v[2:3], off offset:4
	s_nop 0
	global_load_ubyte v5, v[2:3], off offset:21
	global_load_dword v6, v[2:3], off
	s_waitcnt vmcnt(2)
	v_lshrrev_b16_e32 v7, 9, v4
	v_lshrrev_b32_e32 v4, 25, v4
	s_waitcnt vmcnt(1)
	v_and_b32_e32 v8, 15, v5
	v_and_b32_e32 v7, 16, v7
	v_lshrrev_b16_e32 v5, 4, v5
	v_and_b32_e32 v4, 16, v4
	v_or_b32_e32 v7, v7, v8
	v_or_b32_e32 v4, v4, v5
	v_cvt_f32_ubyte0_e32 v5, v7
	v_cvt_f32_ubyte0_e32 v4, v4
	s_waitcnt vmcnt(0)
	v_fma_mix_f32 v5, v6, v5, v6 op_sel:[0,0,1] op_sel_hi:[1,0,1]
	v_fma_mix_f32 v4, v6, v4, v6 op_sel:[0,0,1] op_sel_hi:[1,0,1]
	global_store_dword v[0:1], v5, off offset:52
	global_store_dword v[0:1], v4, off offset:116
	global_load_dword v4, v[2:3], off offset:4
	s_nop 0
	global_load_ubyte v5, v[2:3], off offset:22
	global_load_dword v6, v[2:3], off
	s_waitcnt vmcnt(2)
	v_lshrrev_b16_e32 v7, 10, v4
	v_lshrrev_b32_e32 v4, 26, v4
	s_waitcnt vmcnt(1)
	v_and_b32_e32 v8, 15, v5
	v_and_b32_e32 v7, 16, v7
	v_lshrrev_b16_e32 v5, 4, v5
	v_and_b32_e32 v4, 16, v4
	;; [unrolled: 21-line block ×3, first 2 shown]
	v_or_b32_e32 v2, v2, v4
	v_or_b32_e32 v3, v3, v5
	v_cvt_f32_ubyte0_e32 v2, v2
	v_cvt_f32_ubyte0_e32 v3, v3
	s_waitcnt vmcnt(0)
	v_fma_mix_f32 v2, v6, v2, v6 op_sel:[0,0,1] op_sel_hi:[1,0,1]
	v_fma_mix_f32 v3, v6, v3, v6 op_sel:[0,0,1] op_sel_hi:[1,0,1]
	global_store_dword v[0:1], v2, off offset:60
	global_store_dword v[0:1], v3, off offset:124
.LBB9_26:
	s_endpgm
	.section	.rodata,"a",@progbits
	.p2align	6, 0x0
	.amdhsa_kernel _ZL9cpy_q_f32IXadL_ZL14cpy_blck_q_f32IXadL_ZL15dequantize_q5_1PKvliR15HIP_vector_typeIfLj2EEEELi32EEvPKcPcEELi32EEvS7_S8_lllllllllllllll
		.amdhsa_group_segment_fixed_size 0
		.amdhsa_private_segment_fixed_size 0
		.amdhsa_kernarg_size 392
		.amdhsa_user_sgpr_count 6
		.amdhsa_user_sgpr_private_segment_buffer 1
		.amdhsa_user_sgpr_dispatch_ptr 0
		.amdhsa_user_sgpr_queue_ptr 0
		.amdhsa_user_sgpr_kernarg_segment_ptr 1
		.amdhsa_user_sgpr_dispatch_id 0
		.amdhsa_user_sgpr_flat_scratch_init 0
		.amdhsa_user_sgpr_private_segment_size 0
		.amdhsa_uses_dynamic_stack 0
		.amdhsa_system_sgpr_private_segment_wavefront_offset 0
		.amdhsa_system_sgpr_workgroup_id_x 1
		.amdhsa_system_sgpr_workgroup_id_y 0
		.amdhsa_system_sgpr_workgroup_id_z 0
		.amdhsa_system_sgpr_workgroup_info 0
		.amdhsa_system_vgpr_workitem_id 0
		.amdhsa_next_free_vgpr 25
		.amdhsa_next_free_sgpr 52
		.amdhsa_reserve_vcc 1
		.amdhsa_reserve_flat_scratch 0
		.amdhsa_float_round_mode_32 0
		.amdhsa_float_round_mode_16_64 0
		.amdhsa_float_denorm_mode_32 3
		.amdhsa_float_denorm_mode_16_64 3
		.amdhsa_dx10_clamp 1
		.amdhsa_ieee_mode 1
		.amdhsa_fp16_overflow 0
		.amdhsa_exception_fp_ieee_invalid_op 0
		.amdhsa_exception_fp_denorm_src 0
		.amdhsa_exception_fp_ieee_div_zero 0
		.amdhsa_exception_fp_ieee_overflow 0
		.amdhsa_exception_fp_ieee_underflow 0
		.amdhsa_exception_fp_ieee_inexact 0
		.amdhsa_exception_int_div_zero 0
	.end_amdhsa_kernel
	.section	.text._ZL9cpy_q_f32IXadL_ZL14cpy_blck_q_f32IXadL_ZL15dequantize_q5_1PKvliR15HIP_vector_typeIfLj2EEEELi32EEvPKcPcEELi32EEvS7_S8_lllllllllllllll,"axG",@progbits,_ZL9cpy_q_f32IXadL_ZL14cpy_blck_q_f32IXadL_ZL15dequantize_q5_1PKvliR15HIP_vector_typeIfLj2EEEELi32EEvPKcPcEELi32EEvS7_S8_lllllllllllllll,comdat
.Lfunc_end9:
	.size	_ZL9cpy_q_f32IXadL_ZL14cpy_blck_q_f32IXadL_ZL15dequantize_q5_1PKvliR15HIP_vector_typeIfLj2EEEELi32EEvPKcPcEELi32EEvS7_S8_lllllllllllllll, .Lfunc_end9-_ZL9cpy_q_f32IXadL_ZL14cpy_blck_q_f32IXadL_ZL15dequantize_q5_1PKvliR15HIP_vector_typeIfLj2EEEELi32EEvPKcPcEELi32EEvS7_S8_lllllllllllllll
                                        ; -- End function
	.set _ZL9cpy_q_f32IXadL_ZL14cpy_blck_q_f32IXadL_ZL15dequantize_q5_1PKvliR15HIP_vector_typeIfLj2EEEELi32EEvPKcPcEELi32EEvS7_S8_lllllllllllllll.num_vgpr, 25
	.set _ZL9cpy_q_f32IXadL_ZL14cpy_blck_q_f32IXadL_ZL15dequantize_q5_1PKvliR15HIP_vector_typeIfLj2EEEELi32EEvPKcPcEELi32EEvS7_S8_lllllllllllllll.num_agpr, 0
	.set _ZL9cpy_q_f32IXadL_ZL14cpy_blck_q_f32IXadL_ZL15dequantize_q5_1PKvliR15HIP_vector_typeIfLj2EEEELi32EEvPKcPcEELi32EEvS7_S8_lllllllllllllll.numbered_sgpr, 52
	.set _ZL9cpy_q_f32IXadL_ZL14cpy_blck_q_f32IXadL_ZL15dequantize_q5_1PKvliR15HIP_vector_typeIfLj2EEEELi32EEvPKcPcEELi32EEvS7_S8_lllllllllllllll.num_named_barrier, 0
	.set _ZL9cpy_q_f32IXadL_ZL14cpy_blck_q_f32IXadL_ZL15dequantize_q5_1PKvliR15HIP_vector_typeIfLj2EEEELi32EEvPKcPcEELi32EEvS7_S8_lllllllllllllll.private_seg_size, 0
	.set _ZL9cpy_q_f32IXadL_ZL14cpy_blck_q_f32IXadL_ZL15dequantize_q5_1PKvliR15HIP_vector_typeIfLj2EEEELi32EEvPKcPcEELi32EEvS7_S8_lllllllllllllll.uses_vcc, 1
	.set _ZL9cpy_q_f32IXadL_ZL14cpy_blck_q_f32IXadL_ZL15dequantize_q5_1PKvliR15HIP_vector_typeIfLj2EEEELi32EEvPKcPcEELi32EEvS7_S8_lllllllllllllll.uses_flat_scratch, 0
	.set _ZL9cpy_q_f32IXadL_ZL14cpy_blck_q_f32IXadL_ZL15dequantize_q5_1PKvliR15HIP_vector_typeIfLj2EEEELi32EEvPKcPcEELi32EEvS7_S8_lllllllllllllll.has_dyn_sized_stack, 0
	.set _ZL9cpy_q_f32IXadL_ZL14cpy_blck_q_f32IXadL_ZL15dequantize_q5_1PKvliR15HIP_vector_typeIfLj2EEEELi32EEvPKcPcEELi32EEvS7_S8_lllllllllllllll.has_recursion, 0
	.set _ZL9cpy_q_f32IXadL_ZL14cpy_blck_q_f32IXadL_ZL15dequantize_q5_1PKvliR15HIP_vector_typeIfLj2EEEELi32EEvPKcPcEELi32EEvS7_S8_lllllllllllllll.has_indirect_call, 0
	.section	.AMDGPU.csdata,"",@progbits
; Kernel info:
; codeLenInByte = 7028
; TotalNumSgprs: 56
; NumVgprs: 25
; ScratchSize: 0
; MemoryBound: 0
; FloatMode: 240
; IeeeMode: 1
; LDSByteSize: 0 bytes/workgroup (compile time only)
; SGPRBlocks: 6
; VGPRBlocks: 6
; NumSGPRsForWavesPerEU: 56
; NumVGPRsForWavesPerEU: 25
; Occupancy: 9
; WaveLimiterHint : 0
; COMPUTE_PGM_RSRC2:SCRATCH_EN: 0
; COMPUTE_PGM_RSRC2:USER_SGPR: 6
; COMPUTE_PGM_RSRC2:TRAP_HANDLER: 0
; COMPUTE_PGM_RSRC2:TGID_X_EN: 1
; COMPUTE_PGM_RSRC2:TGID_Y_EN: 0
; COMPUTE_PGM_RSRC2:TGID_Z_EN: 0
; COMPUTE_PGM_RSRC2:TIDIG_COMP_CNT: 0
	.section	.text._ZL9cpy_f32_qIXadL_ZL19cpy_blck_f32_iq4_nlPKcPcEELi32EEvS1_S2_lllllllllllllll,"axG",@progbits,_ZL9cpy_f32_qIXadL_ZL19cpy_blck_f32_iq4_nlPKcPcEELi32EEvS1_S2_lllllllllllllll,comdat
	.globl	_ZL9cpy_f32_qIXadL_ZL19cpy_blck_f32_iq4_nlPKcPcEELi32EEvS1_S2_lllllllllllllll ; -- Begin function _ZL9cpy_f32_qIXadL_ZL19cpy_blck_f32_iq4_nlPKcPcEELi32EEvS1_S2_lllllllllllllll
	.p2align	8
	.type	_ZL9cpy_f32_qIXadL_ZL19cpy_blck_f32_iq4_nlPKcPcEELi32EEvS1_S2_lllllllllllllll,@function
_ZL9cpy_f32_qIXadL_ZL19cpy_blck_f32_iq4_nlPKcPcEELi32EEvS1_S2_lllllllllllllll: ; @_ZL9cpy_f32_qIXadL_ZL19cpy_blck_f32_iq4_nlPKcPcEELi32EEvS1_S2_lllllllllllllll
; %bb.0:
	s_load_dword s0, s[4:5], 0x94
	v_mov_b32_e32 v2, 0
	v_mov_b32_e32 v1, v2
	;; [unrolled: 1-line block ×3, first 2 shown]
	s_load_dwordx16 s[8:23], s[4:5], 0x0
	s_waitcnt lgkmcnt(0)
	s_and_b32 s0, s0, 0xffff
	v_mad_u64_u32 v[0:1], s[0:1], s0, v3, v[0:1]
	v_lshlrev_b64 v[4:5], 5, v[0:1]
	v_cmp_gt_i64_e32 vcc, s[12:13], v[4:5]
	s_and_saveexec_b64 s[0:1], vcc
	s_cbranch_execz .LBB10_40
; %bb.1:
	s_mul_i32 s0, s16, s15
	s_mul_hi_u32 s1, s16, s14
	s_add_i32 s0, s1, s0
	s_mul_i32 s1, s17, s14
	s_mul_i32 s16, s16, s14
	s_add_i32 s17, s0, s1
	s_mul_i32 s0, s16, s19
	s_mul_hi_u32 s1, s16, s18
	s_add_i32 s0, s1, s0
	s_mul_i32 s1, s17, s18
	s_add_i32 s19, s0, s1
	v_or_b32_e32 v3, s19, v5
	v_cmp_ne_u64_e32 vcc, 0, v[2:3]
	s_mul_i32 s18, s16, s18
	v_ashrrev_i32_e32 v10, 31, v5
                                        ; implicit-def: $vgpr0_vgpr1
	s_and_saveexec_b64 s[0:1], vcc
	s_xor_b64 s[2:3], exec, s[0:1]
	s_cbranch_execz .LBB10_3
; %bb.2:
	s_ashr_i32 s6, s19, 31
	s_add_u32 s0, s18, s6
	s_mov_b32 s7, s6
	s_addc_u32 s1, s19, s6
	s_xor_b64 s[12:13], s[0:1], s[6:7]
	v_cvt_f32_u32_e32 v0, s12
	v_cvt_f32_u32_e32 v1, s13
	s_sub_u32 s7, 0, s12
	s_subb_u32 s24, 0, s13
	v_madmk_f32 v0, v1, 0x4f800000, v0
	v_rcp_f32_e32 v0, v0
	v_mul_f32_e32 v0, 0x5f7ffffc, v0
	v_mul_f32_e32 v1, 0x2f800000, v0
	v_trunc_f32_e32 v1, v1
	v_madmk_f32 v0, v1, 0xcf800000, v0
	v_cvt_u32_f32_e32 v1, v1
	v_cvt_u32_f32_e32 v0, v0
	v_readfirstlane_b32 s25, v1
	v_readfirstlane_b32 s0, v0
	s_mul_i32 s1, s7, s25
	s_mul_hi_u32 s27, s7, s0
	s_mul_i32 s26, s24, s0
	s_add_i32 s1, s27, s1
	s_add_i32 s1, s1, s26
	s_mul_i32 s28, s7, s0
	s_mul_i32 s27, s0, s1
	s_mul_hi_u32 s29, s0, s28
	s_mul_hi_u32 s26, s0, s1
	s_add_u32 s27, s29, s27
	s_addc_u32 s26, 0, s26
	s_mul_hi_u32 s30, s25, s28
	s_mul_i32 s28, s25, s28
	s_add_u32 s27, s27, s28
	s_mul_hi_u32 s29, s25, s1
	s_addc_u32 s26, s26, s30
	s_addc_u32 s27, s29, 0
	s_mul_i32 s1, s25, s1
	s_add_u32 s1, s26, s1
	s_addc_u32 s26, 0, s27
	s_add_u32 s27, s0, s1
	s_cselect_b64 s[0:1], -1, 0
	s_cmp_lg_u64 s[0:1], 0
	s_addc_u32 s25, s25, s26
	s_mul_i32 s0, s7, s25
	s_mul_hi_u32 s1, s7, s27
	s_add_i32 s0, s1, s0
	s_mul_i32 s24, s24, s27
	s_add_i32 s0, s0, s24
	s_mul_i32 s7, s7, s27
	s_mul_hi_u32 s24, s25, s7
	s_mul_i32 s26, s25, s7
	s_mul_i32 s29, s27, s0
	s_mul_hi_u32 s7, s27, s7
	s_mul_hi_u32 s28, s27, s0
	s_add_u32 s7, s7, s29
	s_addc_u32 s28, 0, s28
	s_add_u32 s7, s7, s26
	s_mul_hi_u32 s1, s25, s0
	s_addc_u32 s7, s28, s24
	s_addc_u32 s1, s1, 0
	s_mul_i32 s0, s25, s0
	s_add_u32 s0, s7, s0
	s_addc_u32 s7, 0, s1
	s_add_u32 s24, s27, s0
	s_cselect_b64 s[0:1], -1, 0
	s_cmp_lg_u64 s[0:1], 0
	v_add_co_u32_e32 v0, vcc, v4, v10
	s_addc_u32 s7, s25, s7
	v_xor_b32_e32 v6, v0, v10
	v_mad_u64_u32 v[0:1], s[0:1], v6, s7, 0
	v_mul_hi_u32 v3, v6, s24
	v_addc_co_u32_e32 v2, vcc, v5, v10, vcc
	v_xor_b32_e32 v7, v2, v10
	v_add_co_u32_e32 v8, vcc, v3, v0
	v_addc_co_u32_e32 v9, vcc, 0, v1, vcc
	v_mad_u64_u32 v[0:1], s[0:1], v7, s24, 0
	v_mad_u64_u32 v[2:3], s[0:1], v7, s7, 0
	v_add_co_u32_e32 v0, vcc, v8, v0
	v_addc_co_u32_e32 v0, vcc, v9, v1, vcc
	v_addc_co_u32_e32 v1, vcc, 0, v3, vcc
	v_add_co_u32_e32 v2, vcc, v0, v2
	v_addc_co_u32_e32 v3, vcc, 0, v1, vcc
	v_mul_lo_u32 v8, s13, v2
	v_mul_lo_u32 v9, s12, v3
	v_mad_u64_u32 v[0:1], s[0:1], s12, v2, 0
	v_add3_u32 v1, v1, v9, v8
	v_sub_u32_e32 v8, v7, v1
	v_mov_b32_e32 v9, s13
	v_sub_co_u32_e32 v0, vcc, v6, v0
	v_subb_co_u32_e64 v6, s[0:1], v8, v9, vcc
	v_subrev_co_u32_e64 v8, s[0:1], s12, v0
	v_subbrev_co_u32_e64 v6, s[0:1], 0, v6, s[0:1]
	v_cmp_le_u32_e64 s[0:1], s13, v6
	v_cndmask_b32_e64 v9, 0, -1, s[0:1]
	v_cmp_le_u32_e64 s[0:1], s12, v8
	v_cndmask_b32_e64 v8, 0, -1, s[0:1]
	v_cmp_eq_u32_e64 s[0:1], s13, v6
	v_cndmask_b32_e64 v6, v9, v8, s[0:1]
	v_add_co_u32_e64 v8, s[0:1], 2, v2
	v_subb_co_u32_e32 v1, vcc, v7, v1, vcc
	v_addc_co_u32_e64 v9, s[0:1], 0, v3, s[0:1]
	v_cmp_le_u32_e32 vcc, s13, v1
	v_add_co_u32_e64 v11, s[0:1], 1, v2
	v_cndmask_b32_e64 v7, 0, -1, vcc
	v_cmp_le_u32_e32 vcc, s12, v0
	v_addc_co_u32_e64 v12, s[0:1], 0, v3, s[0:1]
	v_cndmask_b32_e64 v0, 0, -1, vcc
	v_cmp_eq_u32_e32 vcc, s13, v1
	v_cmp_ne_u32_e64 s[0:1], 0, v6
	v_cndmask_b32_e32 v0, v7, v0, vcc
	v_cndmask_b32_e64 v6, v12, v9, s[0:1]
	v_cmp_ne_u32_e32 vcc, 0, v0
	v_cndmask_b32_e64 v1, v11, v8, s[0:1]
	v_cndmask_b32_e32 v0, v3, v6, vcc
	v_cndmask_b32_e32 v1, v2, v1, vcc
	v_xor_b32_e32 v2, s6, v10
	v_xor_b32_e32 v3, v0, v2
	;; [unrolled: 1-line block ×3, first 2 shown]
	v_sub_co_u32_e32 v0, vcc, v0, v2
	v_subb_co_u32_e32 v1, vcc, v3, v2, vcc
.LBB10_3:
	s_andn2_saveexec_b64 s[0:1], s[2:3]
	s_cbranch_execz .LBB10_5
; %bb.4:
	v_cvt_f32_u32_e32 v0, s18
	s_sub_i32 s2, 0, s18
	v_rcp_iflag_f32_e32 v0, v0
	v_mul_f32_e32 v0, 0x4f7ffffe, v0
	v_cvt_u32_f32_e32 v0, v0
	v_mul_lo_u32 v1, s2, v0
	v_mul_hi_u32 v1, v0, v1
	v_add_u32_e32 v0, v0, v1
	v_mul_hi_u32 v0, v4, v0
	v_mul_lo_u32 v1, v0, s18
	v_add_u32_e32 v2, 1, v0
	v_sub_u32_e32 v1, v4, v1
	v_subrev_u32_e32 v3, s18, v1
	v_cmp_le_u32_e32 vcc, s18, v1
	v_cndmask_b32_e32 v1, v1, v3, vcc
	v_cndmask_b32_e32 v0, v0, v2, vcc
	v_add_u32_e32 v2, 1, v0
	v_cmp_le_u32_e32 vcc, s18, v1
	v_cndmask_b32_e32 v0, v0, v2, vcc
	v_mov_b32_e32 v1, 0
.LBB10_5:
	s_or_b64 exec, exec, s[0:1]
	v_mul_lo_u32 v6, s19, v0
	v_mul_lo_u32 v7, s18, v1
	v_mad_u64_u32 v[2:3], s[0:1], s18, v0, 0
	v_add3_u32 v3, v3, v7, v6
	v_sub_co_u32_e32 v6, vcc, v4, v2
	v_subb_co_u32_e32 v7, vcc, v5, v3, vcc
	v_or_b32_e32 v3, s17, v7
	v_mov_b32_e32 v2, 0
	v_cmp_ne_u64_e32 vcc, 0, v[2:3]
                                        ; implicit-def: $vgpr2_vgpr3
	s_and_saveexec_b64 s[0:1], vcc
	s_xor_b64 s[2:3], exec, s[0:1]
	s_cbranch_execz .LBB10_7
; %bb.6:
	s_ashr_i32 s6, s17, 31
	s_add_u32 s0, s16, s6
	s_mov_b32 s7, s6
	s_addc_u32 s1, s17, s6
	s_xor_b64 s[12:13], s[0:1], s[6:7]
	v_cvt_f32_u32_e32 v2, s12
	v_cvt_f32_u32_e32 v3, s13
	s_sub_u32 s7, 0, s12
	s_subb_u32 s18, 0, s13
	v_ashrrev_i32_e32 v11, 31, v7
	v_madmk_f32 v2, v3, 0x4f800000, v2
	v_rcp_f32_e32 v2, v2
	v_mul_f32_e32 v2, 0x5f7ffffc, v2
	v_mul_f32_e32 v3, 0x2f800000, v2
	v_trunc_f32_e32 v3, v3
	v_madmk_f32 v2, v3, 0xcf800000, v2
	v_cvt_u32_f32_e32 v3, v3
	v_cvt_u32_f32_e32 v2, v2
	v_readfirstlane_b32 s19, v3
	v_readfirstlane_b32 s0, v2
	s_mul_i32 s1, s7, s19
	s_mul_hi_u32 s25, s7, s0
	s_mul_i32 s24, s18, s0
	s_add_i32 s1, s25, s1
	s_add_i32 s1, s1, s24
	s_mul_i32 s26, s7, s0
	s_mul_i32 s25, s0, s1
	s_mul_hi_u32 s27, s0, s26
	s_mul_hi_u32 s24, s0, s1
	s_add_u32 s25, s27, s25
	s_addc_u32 s24, 0, s24
	s_mul_hi_u32 s28, s19, s26
	s_mul_i32 s26, s19, s26
	s_add_u32 s25, s25, s26
	s_mul_hi_u32 s27, s19, s1
	s_addc_u32 s24, s24, s28
	s_addc_u32 s25, s27, 0
	s_mul_i32 s1, s19, s1
	s_add_u32 s1, s24, s1
	s_addc_u32 s24, 0, s25
	s_add_u32 s25, s0, s1
	s_cselect_b64 s[0:1], -1, 0
	s_cmp_lg_u64 s[0:1], 0
	s_addc_u32 s19, s19, s24
	s_mul_i32 s0, s7, s19
	s_mul_hi_u32 s1, s7, s25
	s_add_i32 s0, s1, s0
	s_mul_i32 s18, s18, s25
	s_add_i32 s0, s0, s18
	s_mul_i32 s7, s7, s25
	s_mul_hi_u32 s18, s19, s7
	s_mul_i32 s24, s19, s7
	s_mul_i32 s27, s25, s0
	s_mul_hi_u32 s7, s25, s7
	s_mul_hi_u32 s26, s25, s0
	s_add_u32 s7, s7, s27
	s_addc_u32 s26, 0, s26
	s_add_u32 s7, s7, s24
	s_mul_hi_u32 s1, s19, s0
	s_addc_u32 s7, s26, s18
	s_addc_u32 s1, s1, 0
	s_mul_i32 s0, s19, s0
	s_add_u32 s0, s7, s0
	s_addc_u32 s7, 0, s1
	s_add_u32 s18, s25, s0
	s_cselect_b64 s[0:1], -1, 0
	s_cmp_lg_u64 s[0:1], 0
	v_add_co_u32_e32 v2, vcc, v6, v11
	s_addc_u32 s7, s19, s7
	v_xor_b32_e32 v12, v2, v11
	v_mad_u64_u32 v[2:3], s[0:1], v12, s7, 0
	v_mul_hi_u32 v9, v12, s18
	v_addc_co_u32_e32 v8, vcc, v7, v11, vcc
	v_xor_b32_e32 v13, v8, v11
	v_add_co_u32_e32 v14, vcc, v9, v2
	v_addc_co_u32_e32 v15, vcc, 0, v3, vcc
	v_mad_u64_u32 v[2:3], s[0:1], v13, s18, 0
	v_mad_u64_u32 v[8:9], s[0:1], v13, s7, 0
	v_add_co_u32_e32 v2, vcc, v14, v2
	v_addc_co_u32_e32 v2, vcc, v15, v3, vcc
	v_addc_co_u32_e32 v3, vcc, 0, v9, vcc
	v_add_co_u32_e32 v8, vcc, v2, v8
	v_addc_co_u32_e32 v9, vcc, 0, v3, vcc
	v_mul_lo_u32 v14, s13, v8
	v_mul_lo_u32 v15, s12, v9
	v_mad_u64_u32 v[2:3], s[0:1], s12, v8, 0
	v_add3_u32 v3, v3, v15, v14
	v_sub_u32_e32 v14, v13, v3
	v_mov_b32_e32 v15, s13
	v_sub_co_u32_e32 v2, vcc, v12, v2
	v_subb_co_u32_e64 v12, s[0:1], v14, v15, vcc
	v_subrev_co_u32_e64 v14, s[0:1], s12, v2
	v_subbrev_co_u32_e64 v12, s[0:1], 0, v12, s[0:1]
	v_cmp_le_u32_e64 s[0:1], s13, v12
	v_cndmask_b32_e64 v15, 0, -1, s[0:1]
	v_cmp_le_u32_e64 s[0:1], s12, v14
	v_cndmask_b32_e64 v14, 0, -1, s[0:1]
	v_cmp_eq_u32_e64 s[0:1], s13, v12
	v_cndmask_b32_e64 v12, v15, v14, s[0:1]
	v_add_co_u32_e64 v14, s[0:1], 2, v8
	v_subb_co_u32_e32 v3, vcc, v13, v3, vcc
	v_addc_co_u32_e64 v15, s[0:1], 0, v9, s[0:1]
	v_cmp_le_u32_e32 vcc, s13, v3
	v_add_co_u32_e64 v16, s[0:1], 1, v8
	v_cndmask_b32_e64 v13, 0, -1, vcc
	v_cmp_le_u32_e32 vcc, s12, v2
	v_addc_co_u32_e64 v17, s[0:1], 0, v9, s[0:1]
	v_cndmask_b32_e64 v2, 0, -1, vcc
	v_cmp_eq_u32_e32 vcc, s13, v3
	v_cmp_ne_u32_e64 s[0:1], 0, v12
	v_cndmask_b32_e32 v2, v13, v2, vcc
	v_cndmask_b32_e64 v12, v17, v15, s[0:1]
	v_cmp_ne_u32_e32 vcc, 0, v2
	v_cndmask_b32_e64 v3, v16, v14, s[0:1]
	v_cndmask_b32_e32 v2, v9, v12, vcc
	v_cndmask_b32_e32 v3, v8, v3, vcc
	v_xor_b32_e32 v8, s6, v11
	v_xor_b32_e32 v9, v2, v8
	;; [unrolled: 1-line block ×3, first 2 shown]
	v_sub_co_u32_e32 v2, vcc, v2, v8
	v_subb_co_u32_e32 v3, vcc, v9, v8, vcc
.LBB10_7:
	s_andn2_saveexec_b64 s[0:1], s[2:3]
	s_cbranch_execz .LBB10_9
; %bb.8:
	v_cvt_f32_u32_e32 v2, s16
	s_sub_i32 s2, 0, s16
	v_rcp_iflag_f32_e32 v2, v2
	v_mul_f32_e32 v2, 0x4f7ffffe, v2
	v_cvt_u32_f32_e32 v2, v2
	v_mul_lo_u32 v3, s2, v2
	v_mul_hi_u32 v3, v2, v3
	v_add_u32_e32 v2, v2, v3
	v_mul_hi_u32 v2, v6, v2
	v_mul_lo_u32 v3, v2, s16
	v_add_u32_e32 v8, 1, v2
	v_sub_u32_e32 v3, v6, v3
	v_subrev_u32_e32 v9, s16, v3
	v_cmp_le_u32_e32 vcc, s16, v3
	v_cndmask_b32_e32 v3, v3, v9, vcc
	v_cndmask_b32_e32 v2, v2, v8, vcc
	v_add_u32_e32 v8, 1, v2
	v_cmp_le_u32_e32 vcc, s16, v3
	v_cndmask_b32_e32 v2, v2, v8, vcc
	v_mov_b32_e32 v3, 0
.LBB10_9:
	s_or_b64 exec, exec, s[0:1]
	v_mul_lo_u32 v11, s17, v2
	v_mul_lo_u32 v12, s16, v3
	v_mad_u64_u32 v[8:9], s[0:1], s16, v2, 0
	v_add3_u32 v9, v9, v12, v11
	v_sub_co_u32_e32 v12, vcc, v6, v8
	v_subb_co_u32_e32 v13, vcc, v7, v9, vcc
	v_or_b32_e32 v7, s15, v13
	v_mov_b32_e32 v6, 0
	v_cmp_ne_u64_e32 vcc, 0, v[6:7]
                                        ; implicit-def: $vgpr8_vgpr9
	s_and_saveexec_b64 s[0:1], vcc
	s_xor_b64 s[2:3], exec, s[0:1]
	s_cbranch_execz .LBB10_11
; %bb.10:
	s_ashr_i32 s6, s15, 31
	s_add_u32 s0, s14, s6
	s_mov_b32 s7, s6
	s_addc_u32 s1, s15, s6
	s_xor_b64 s[12:13], s[0:1], s[6:7]
	v_cvt_f32_u32_e32 v6, s12
	v_cvt_f32_u32_e32 v7, s13
	s_sub_u32 s7, 0, s12
	s_subb_u32 s16, 0, s13
	v_ashrrev_i32_e32 v11, 31, v13
	v_madmk_f32 v6, v7, 0x4f800000, v6
	v_rcp_f32_e32 v6, v6
	v_mul_f32_e32 v6, 0x5f7ffffc, v6
	v_mul_f32_e32 v7, 0x2f800000, v6
	v_trunc_f32_e32 v7, v7
	v_madmk_f32 v6, v7, 0xcf800000, v6
	v_cvt_u32_f32_e32 v7, v7
	v_cvt_u32_f32_e32 v6, v6
	v_readfirstlane_b32 s17, v7
	v_readfirstlane_b32 s0, v6
	s_mul_i32 s1, s7, s17
	s_mul_hi_u32 s19, s7, s0
	s_mul_i32 s18, s16, s0
	s_add_i32 s1, s19, s1
	s_add_i32 s1, s1, s18
	s_mul_i32 s24, s7, s0
	s_mul_i32 s19, s0, s1
	s_mul_hi_u32 s25, s0, s24
	s_mul_hi_u32 s18, s0, s1
	s_add_u32 s19, s25, s19
	s_addc_u32 s18, 0, s18
	s_mul_hi_u32 s26, s17, s24
	s_mul_i32 s24, s17, s24
	s_add_u32 s19, s19, s24
	s_mul_hi_u32 s25, s17, s1
	s_addc_u32 s18, s18, s26
	s_addc_u32 s19, s25, 0
	s_mul_i32 s1, s17, s1
	s_add_u32 s1, s18, s1
	s_addc_u32 s18, 0, s19
	s_add_u32 s19, s0, s1
	s_cselect_b64 s[0:1], -1, 0
	s_cmp_lg_u64 s[0:1], 0
	s_addc_u32 s17, s17, s18
	s_mul_i32 s0, s7, s17
	s_mul_hi_u32 s1, s7, s19
	s_add_i32 s0, s1, s0
	s_mul_i32 s16, s16, s19
	s_add_i32 s0, s0, s16
	s_mul_i32 s7, s7, s19
	s_mul_hi_u32 s16, s17, s7
	s_mul_i32 s18, s17, s7
	s_mul_i32 s25, s19, s0
	s_mul_hi_u32 s7, s19, s7
	s_mul_hi_u32 s24, s19, s0
	s_add_u32 s7, s7, s25
	s_addc_u32 s24, 0, s24
	s_add_u32 s7, s7, s18
	s_mul_hi_u32 s1, s17, s0
	s_addc_u32 s7, s24, s16
	s_addc_u32 s1, s1, 0
	s_mul_i32 s0, s17, s0
	s_add_u32 s0, s7, s0
	s_addc_u32 s7, 0, s1
	s_add_u32 s16, s19, s0
	s_cselect_b64 s[0:1], -1, 0
	s_cmp_lg_u64 s[0:1], 0
	v_add_co_u32_e32 v6, vcc, v12, v11
	s_addc_u32 s7, s17, s7
	v_xor_b32_e32 v14, v6, v11
	v_mad_u64_u32 v[6:7], s[0:1], v14, s7, 0
	v_mul_hi_u32 v9, v14, s16
	v_addc_co_u32_e32 v8, vcc, v13, v11, vcc
	v_xor_b32_e32 v15, v8, v11
	v_add_co_u32_e32 v16, vcc, v9, v6
	v_addc_co_u32_e32 v17, vcc, 0, v7, vcc
	v_mad_u64_u32 v[6:7], s[0:1], v15, s16, 0
	v_mad_u64_u32 v[8:9], s[0:1], v15, s7, 0
	v_add_co_u32_e32 v6, vcc, v16, v6
	v_addc_co_u32_e32 v6, vcc, v17, v7, vcc
	v_addc_co_u32_e32 v7, vcc, 0, v9, vcc
	v_add_co_u32_e32 v8, vcc, v6, v8
	v_addc_co_u32_e32 v9, vcc, 0, v7, vcc
	v_mul_lo_u32 v16, s13, v8
	v_mul_lo_u32 v17, s12, v9
	v_mad_u64_u32 v[6:7], s[0:1], s12, v8, 0
	v_add3_u32 v7, v7, v17, v16
	v_sub_u32_e32 v16, v15, v7
	v_mov_b32_e32 v17, s13
	v_sub_co_u32_e32 v6, vcc, v14, v6
	v_subb_co_u32_e64 v14, s[0:1], v16, v17, vcc
	v_subrev_co_u32_e64 v16, s[0:1], s12, v6
	v_subbrev_co_u32_e64 v14, s[0:1], 0, v14, s[0:1]
	v_cmp_le_u32_e64 s[0:1], s13, v14
	v_cndmask_b32_e64 v17, 0, -1, s[0:1]
	v_cmp_le_u32_e64 s[0:1], s12, v16
	v_cndmask_b32_e64 v16, 0, -1, s[0:1]
	v_cmp_eq_u32_e64 s[0:1], s13, v14
	v_cndmask_b32_e64 v14, v17, v16, s[0:1]
	v_add_co_u32_e64 v16, s[0:1], 2, v8
	v_subb_co_u32_e32 v7, vcc, v15, v7, vcc
	v_addc_co_u32_e64 v17, s[0:1], 0, v9, s[0:1]
	v_cmp_le_u32_e32 vcc, s13, v7
	v_add_co_u32_e64 v18, s[0:1], 1, v8
	v_cndmask_b32_e64 v15, 0, -1, vcc
	v_cmp_le_u32_e32 vcc, s12, v6
	v_addc_co_u32_e64 v19, s[0:1], 0, v9, s[0:1]
	v_cndmask_b32_e64 v6, 0, -1, vcc
	v_cmp_eq_u32_e32 vcc, s13, v7
	v_cmp_ne_u32_e64 s[0:1], 0, v14
	v_cndmask_b32_e32 v6, v15, v6, vcc
	v_cndmask_b32_e64 v14, v19, v17, s[0:1]
	v_cmp_ne_u32_e32 vcc, 0, v6
	v_cndmask_b32_e64 v7, v18, v16, s[0:1]
	v_cndmask_b32_e32 v6, v9, v14, vcc
	v_cndmask_b32_e32 v7, v8, v7, vcc
	v_xor_b32_e32 v9, s6, v11
	v_xor_b32_e32 v7, v7, v9
	v_xor_b32_e32 v6, v6, v9
	v_sub_co_u32_e32 v8, vcc, v7, v9
	v_subb_co_u32_e32 v9, vcc, v6, v9, vcc
.LBB10_11:
	s_andn2_saveexec_b64 s[0:1], s[2:3]
	s_cbranch_execz .LBB10_13
; %bb.12:
	v_cvt_f32_u32_e32 v6, s14
	s_sub_i32 s2, 0, s14
	v_rcp_iflag_f32_e32 v6, v6
	v_mul_f32_e32 v6, 0x4f7ffffe, v6
	v_cvt_u32_f32_e32 v6, v6
	v_mul_lo_u32 v7, s2, v6
	v_mul_hi_u32 v7, v6, v7
	v_add_u32_e32 v6, v6, v7
	v_mul_hi_u32 v6, v12, v6
	v_mul_lo_u32 v7, v6, s14
	v_add_u32_e32 v8, 1, v6
	v_sub_u32_e32 v7, v12, v7
	v_subrev_u32_e32 v9, s14, v7
	v_cmp_le_u32_e32 vcc, s14, v7
	v_cndmask_b32_e32 v7, v7, v9, vcc
	v_cndmask_b32_e32 v6, v6, v8, vcc
	v_add_u32_e32 v8, 1, v6
	v_cmp_le_u32_e32 vcc, s14, v7
	v_cndmask_b32_e32 v8, v6, v8, vcc
	v_mov_b32_e32 v9, 0
.LBB10_13:
	s_or_b64 exec, exec, s[0:1]
	s_load_dwordx16 s[36:51], s[4:5], 0x40
	v_mov_b32_e32 v6, 0
	s_waitcnt lgkmcnt(0)
	s_mul_i32 s0, s42, s41
	s_mul_hi_u32 s1, s42, s40
	s_mul_i32 s2, s43, s40
	s_mul_i32 s16, s42, s40
	s_add_i32 s17, s1, s0
	s_mul_i32 s0, s16, s45
	s_add_i32 s17, s17, s2
	s_mul_hi_u32 s1, s16, s44
	s_add_i32 s0, s1, s0
	s_mul_i32 s1, s17, s44
	s_add_i32 s18, s0, s1
	v_or_b32_e32 v7, s18, v5
	v_cmp_ne_u64_e32 vcc, 0, v[6:7]
	s_mul_i32 s19, s16, s44
                                        ; implicit-def: $vgpr6_vgpr7
	s_and_saveexec_b64 s[0:1], vcc
	s_xor_b64 s[2:3], exec, s[0:1]
	s_cbranch_execz .LBB10_15
; %bb.14:
	s_ashr_i32 s6, s18, 31
	s_add_u32 s0, s19, s6
	s_mov_b32 s7, s6
	s_addc_u32 s1, s18, s6
	s_xor_b64 s[12:13], s[0:1], s[6:7]
	v_cvt_f32_u32_e32 v6, s12
	v_cvt_f32_u32_e32 v7, s13
	s_sub_u32 s7, 0, s12
	s_subb_u32 s24, 0, s13
	v_madmk_f32 v6, v7, 0x4f800000, v6
	v_rcp_f32_e32 v6, v6
	v_mul_f32_e32 v6, 0x5f7ffffc, v6
	v_mul_f32_e32 v7, 0x2f800000, v6
	v_trunc_f32_e32 v7, v7
	v_madmk_f32 v6, v7, 0xcf800000, v6
	v_cvt_u32_f32_e32 v7, v7
	v_cvt_u32_f32_e32 v6, v6
	v_readfirstlane_b32 s25, v7
	v_readfirstlane_b32 s0, v6
	s_mul_i32 s1, s7, s25
	s_mul_hi_u32 s27, s7, s0
	s_mul_i32 s26, s24, s0
	s_add_i32 s1, s27, s1
	s_add_i32 s1, s1, s26
	s_mul_i32 s28, s7, s0
	s_mul_i32 s27, s0, s1
	s_mul_hi_u32 s29, s0, s28
	s_mul_hi_u32 s26, s0, s1
	s_add_u32 s27, s29, s27
	s_addc_u32 s26, 0, s26
	s_mul_hi_u32 s30, s25, s28
	s_mul_i32 s28, s25, s28
	s_add_u32 s27, s27, s28
	s_mul_hi_u32 s29, s25, s1
	s_addc_u32 s26, s26, s30
	s_addc_u32 s27, s29, 0
	s_mul_i32 s1, s25, s1
	s_add_u32 s1, s26, s1
	s_addc_u32 s26, 0, s27
	s_add_u32 s27, s0, s1
	s_cselect_b64 s[0:1], -1, 0
	s_cmp_lg_u64 s[0:1], 0
	s_addc_u32 s25, s25, s26
	s_mul_i32 s0, s7, s25
	s_mul_hi_u32 s1, s7, s27
	s_add_i32 s0, s1, s0
	s_mul_i32 s24, s24, s27
	s_add_i32 s0, s0, s24
	s_mul_i32 s7, s7, s27
	s_mul_hi_u32 s24, s25, s7
	s_mul_i32 s26, s25, s7
	s_mul_i32 s29, s27, s0
	s_mul_hi_u32 s7, s27, s7
	s_mul_hi_u32 s28, s27, s0
	s_add_u32 s7, s7, s29
	s_addc_u32 s28, 0, s28
	s_add_u32 s7, s7, s26
	s_mul_hi_u32 s1, s25, s0
	s_addc_u32 s7, s28, s24
	s_addc_u32 s1, s1, 0
	s_mul_i32 s0, s25, s0
	s_add_u32 s0, s7, s0
	s_addc_u32 s7, 0, s1
	s_add_u32 s24, s27, s0
	s_cselect_b64 s[0:1], -1, 0
	s_cmp_lg_u64 s[0:1], 0
	v_add_co_u32_e32 v6, vcc, v4, v10
	s_addc_u32 s7, s25, s7
	v_xor_b32_e32 v16, v6, v10
	v_mad_u64_u32 v[6:7], s[0:1], v16, s7, 0
	v_mul_hi_u32 v14, v16, s24
	v_addc_co_u32_e32 v11, vcc, v5, v10, vcc
	v_xor_b32_e32 v11, v11, v10
	v_add_co_u32_e32 v17, vcc, v14, v6
	v_addc_co_u32_e32 v18, vcc, 0, v7, vcc
	v_mad_u64_u32 v[6:7], s[0:1], v11, s24, 0
	v_mad_u64_u32 v[14:15], s[0:1], v11, s7, 0
	v_add_co_u32_e32 v6, vcc, v17, v6
	v_addc_co_u32_e32 v6, vcc, v18, v7, vcc
	v_addc_co_u32_e32 v7, vcc, 0, v15, vcc
	v_add_co_u32_e32 v14, vcc, v6, v14
	v_addc_co_u32_e32 v15, vcc, 0, v7, vcc
	v_mul_lo_u32 v17, s13, v14
	v_mul_lo_u32 v18, s12, v15
	v_mad_u64_u32 v[6:7], s[0:1], s12, v14, 0
	v_xor_b32_e32 v10, s6, v10
	v_add3_u32 v7, v7, v18, v17
	v_sub_u32_e32 v17, v11, v7
	v_mov_b32_e32 v18, s13
	v_sub_co_u32_e32 v6, vcc, v16, v6
	v_subb_co_u32_e64 v16, s[0:1], v17, v18, vcc
	v_subrev_co_u32_e64 v17, s[0:1], s12, v6
	v_subbrev_co_u32_e64 v16, s[0:1], 0, v16, s[0:1]
	v_cmp_le_u32_e64 s[0:1], s13, v16
	v_cndmask_b32_e64 v18, 0, -1, s[0:1]
	v_cmp_le_u32_e64 s[0:1], s12, v17
	v_cndmask_b32_e64 v17, 0, -1, s[0:1]
	v_cmp_eq_u32_e64 s[0:1], s13, v16
	v_cndmask_b32_e64 v16, v18, v17, s[0:1]
	v_add_co_u32_e64 v17, s[0:1], 2, v14
	v_subb_co_u32_e32 v7, vcc, v11, v7, vcc
	v_addc_co_u32_e64 v18, s[0:1], 0, v15, s[0:1]
	v_cmp_le_u32_e32 vcc, s13, v7
	v_add_co_u32_e64 v19, s[0:1], 1, v14
	v_cndmask_b32_e64 v11, 0, -1, vcc
	v_cmp_le_u32_e32 vcc, s12, v6
	v_addc_co_u32_e64 v20, s[0:1], 0, v15, s[0:1]
	v_cndmask_b32_e64 v6, 0, -1, vcc
	v_cmp_eq_u32_e32 vcc, s13, v7
	v_cmp_ne_u32_e64 s[0:1], 0, v16
	v_cndmask_b32_e32 v6, v11, v6, vcc
	v_cndmask_b32_e64 v16, v20, v18, s[0:1]
	v_cmp_ne_u32_e32 vcc, 0, v6
	v_cndmask_b32_e64 v7, v19, v17, s[0:1]
	v_cndmask_b32_e32 v6, v15, v16, vcc
	v_cndmask_b32_e32 v7, v14, v7, vcc
	v_xor_b32_e32 v11, v6, v10
	v_xor_b32_e32 v6, v7, v10
	v_sub_co_u32_e32 v6, vcc, v6, v10
	v_subb_co_u32_e32 v7, vcc, v11, v10, vcc
.LBB10_15:
	s_andn2_saveexec_b64 s[0:1], s[2:3]
	s_cbranch_execz .LBB10_17
; %bb.16:
	v_cvt_f32_u32_e32 v6, s19
	s_sub_i32 s2, 0, s19
	v_rcp_iflag_f32_e32 v6, v6
	v_mul_f32_e32 v6, 0x4f7ffffe, v6
	v_cvt_u32_f32_e32 v6, v6
	v_mul_lo_u32 v7, s2, v6
	v_mul_hi_u32 v7, v6, v7
	v_add_u32_e32 v6, v6, v7
	v_mul_hi_u32 v6, v4, v6
	v_mul_lo_u32 v7, v6, s19
	v_add_u32_e32 v10, 1, v6
	v_sub_u32_e32 v7, v4, v7
	v_subrev_u32_e32 v11, s19, v7
	v_cmp_le_u32_e32 vcc, s19, v7
	v_cndmask_b32_e32 v7, v7, v11, vcc
	v_cndmask_b32_e32 v6, v6, v10, vcc
	v_add_u32_e32 v10, 1, v6
	v_cmp_le_u32_e32 vcc, s19, v7
	v_cndmask_b32_e32 v6, v6, v10, vcc
	v_mov_b32_e32 v7, 0
.LBB10_17:
	s_or_b64 exec, exec, s[0:1]
	v_mul_lo_u32 v14, s18, v6
	v_mul_lo_u32 v15, s19, v7
	v_mad_u64_u32 v[10:11], s[0:1], s19, v6, 0
	v_add3_u32 v11, v11, v15, v14
	v_sub_co_u32_e32 v10, vcc, v4, v10
	v_subb_co_u32_e32 v11, vcc, v5, v11, vcc
	v_or_b32_e32 v5, s17, v11
	v_mov_b32_e32 v4, 0
	v_cmp_ne_u64_e32 vcc, 0, v[4:5]
                                        ; implicit-def: $vgpr4_vgpr5
	s_and_saveexec_b64 s[0:1], vcc
	s_xor_b64 s[2:3], exec, s[0:1]
	s_cbranch_execz .LBB10_19
; %bb.18:
	s_ashr_i32 s6, s17, 31
	s_add_u32 s0, s16, s6
	s_mov_b32 s7, s6
	s_addc_u32 s1, s17, s6
	s_xor_b64 s[12:13], s[0:1], s[6:7]
	v_cvt_f32_u32_e32 v4, s12
	v_cvt_f32_u32_e32 v5, s13
	s_sub_u32 s7, 0, s12
	s_subb_u32 s18, 0, s13
	v_ashrrev_i32_e32 v16, 31, v11
	v_madmk_f32 v4, v5, 0x4f800000, v4
	v_rcp_f32_e32 v4, v4
	v_mul_f32_e32 v4, 0x5f7ffffc, v4
	v_mul_f32_e32 v5, 0x2f800000, v4
	v_trunc_f32_e32 v5, v5
	v_madmk_f32 v4, v5, 0xcf800000, v4
	v_cvt_u32_f32_e32 v5, v5
	v_cvt_u32_f32_e32 v4, v4
	v_readfirstlane_b32 s19, v5
	v_readfirstlane_b32 s0, v4
	s_mul_i32 s1, s7, s19
	s_mul_hi_u32 s25, s7, s0
	s_mul_i32 s24, s18, s0
	s_add_i32 s1, s25, s1
	s_add_i32 s1, s1, s24
	s_mul_i32 s26, s7, s0
	s_mul_i32 s25, s0, s1
	s_mul_hi_u32 s27, s0, s26
	s_mul_hi_u32 s24, s0, s1
	s_add_u32 s25, s27, s25
	s_addc_u32 s24, 0, s24
	s_mul_hi_u32 s28, s19, s26
	s_mul_i32 s26, s19, s26
	s_add_u32 s25, s25, s26
	s_mul_hi_u32 s27, s19, s1
	s_addc_u32 s24, s24, s28
	s_addc_u32 s25, s27, 0
	s_mul_i32 s1, s19, s1
	s_add_u32 s1, s24, s1
	s_addc_u32 s24, 0, s25
	s_add_u32 s25, s0, s1
	s_cselect_b64 s[0:1], -1, 0
	s_cmp_lg_u64 s[0:1], 0
	s_addc_u32 s19, s19, s24
	s_mul_i32 s0, s7, s19
	s_mul_hi_u32 s1, s7, s25
	s_add_i32 s0, s1, s0
	s_mul_i32 s18, s18, s25
	s_add_i32 s0, s0, s18
	s_mul_i32 s7, s7, s25
	s_mul_hi_u32 s18, s19, s7
	s_mul_i32 s24, s19, s7
	s_mul_i32 s27, s25, s0
	s_mul_hi_u32 s7, s25, s7
	s_mul_hi_u32 s26, s25, s0
	s_add_u32 s7, s7, s27
	s_addc_u32 s26, 0, s26
	s_add_u32 s7, s7, s24
	s_mul_hi_u32 s1, s19, s0
	s_addc_u32 s7, s26, s18
	s_addc_u32 s1, s1, 0
	s_mul_i32 s0, s19, s0
	s_add_u32 s0, s7, s0
	s_addc_u32 s7, 0, s1
	s_add_u32 s18, s25, s0
	s_cselect_b64 s[0:1], -1, 0
	s_cmp_lg_u64 s[0:1], 0
	v_add_co_u32_e32 v4, vcc, v10, v16
	s_addc_u32 s7, s19, s7
	v_xor_b32_e32 v17, v4, v16
	v_mad_u64_u32 v[4:5], s[0:1], v17, s7, 0
	v_mul_hi_u32 v15, v17, s18
	v_addc_co_u32_e32 v14, vcc, v11, v16, vcc
	v_xor_b32_e32 v18, v14, v16
	v_add_co_u32_e32 v19, vcc, v15, v4
	v_addc_co_u32_e32 v20, vcc, 0, v5, vcc
	v_mad_u64_u32 v[4:5], s[0:1], v18, s18, 0
	v_mad_u64_u32 v[14:15], s[0:1], v18, s7, 0
	v_add_co_u32_e32 v4, vcc, v19, v4
	v_addc_co_u32_e32 v4, vcc, v20, v5, vcc
	v_addc_co_u32_e32 v5, vcc, 0, v15, vcc
	v_add_co_u32_e32 v14, vcc, v4, v14
	v_addc_co_u32_e32 v15, vcc, 0, v5, vcc
	v_mul_lo_u32 v19, s13, v14
	v_mul_lo_u32 v20, s12, v15
	v_mad_u64_u32 v[4:5], s[0:1], s12, v14, 0
	v_add3_u32 v5, v5, v20, v19
	v_sub_u32_e32 v19, v18, v5
	v_mov_b32_e32 v20, s13
	v_sub_co_u32_e32 v4, vcc, v17, v4
	v_subb_co_u32_e64 v17, s[0:1], v19, v20, vcc
	v_subrev_co_u32_e64 v19, s[0:1], s12, v4
	v_subbrev_co_u32_e64 v17, s[0:1], 0, v17, s[0:1]
	v_cmp_le_u32_e64 s[0:1], s13, v17
	v_cndmask_b32_e64 v20, 0, -1, s[0:1]
	v_cmp_le_u32_e64 s[0:1], s12, v19
	v_cndmask_b32_e64 v19, 0, -1, s[0:1]
	v_cmp_eq_u32_e64 s[0:1], s13, v17
	v_cndmask_b32_e64 v17, v20, v19, s[0:1]
	v_add_co_u32_e64 v19, s[0:1], 2, v14
	v_subb_co_u32_e32 v5, vcc, v18, v5, vcc
	v_addc_co_u32_e64 v20, s[0:1], 0, v15, s[0:1]
	v_cmp_le_u32_e32 vcc, s13, v5
	v_add_co_u32_e64 v21, s[0:1], 1, v14
	v_cndmask_b32_e64 v18, 0, -1, vcc
	v_cmp_le_u32_e32 vcc, s12, v4
	v_addc_co_u32_e64 v22, s[0:1], 0, v15, s[0:1]
	v_cndmask_b32_e64 v4, 0, -1, vcc
	v_cmp_eq_u32_e32 vcc, s13, v5
	v_cmp_ne_u32_e64 s[0:1], 0, v17
	v_cndmask_b32_e32 v4, v18, v4, vcc
	v_cndmask_b32_e64 v17, v22, v20, s[0:1]
	v_cmp_ne_u32_e32 vcc, 0, v4
	v_cndmask_b32_e64 v5, v21, v19, s[0:1]
	v_cndmask_b32_e32 v4, v15, v17, vcc
	v_cndmask_b32_e32 v5, v14, v5, vcc
	v_xor_b32_e32 v14, s6, v16
	v_xor_b32_e32 v15, v4, v14
	;; [unrolled: 1-line block ×3, first 2 shown]
	v_sub_co_u32_e32 v4, vcc, v4, v14
	v_subb_co_u32_e32 v5, vcc, v15, v14, vcc
.LBB10_19:
	s_andn2_saveexec_b64 s[0:1], s[2:3]
	s_cbranch_execz .LBB10_21
; %bb.20:
	v_cvt_f32_u32_e32 v4, s16
	s_sub_i32 s2, 0, s16
	v_rcp_iflag_f32_e32 v4, v4
	v_mul_f32_e32 v4, 0x4f7ffffe, v4
	v_cvt_u32_f32_e32 v4, v4
	v_mul_lo_u32 v5, s2, v4
	v_mul_hi_u32 v5, v4, v5
	v_add_u32_e32 v4, v4, v5
	v_mul_hi_u32 v4, v10, v4
	v_mul_lo_u32 v5, v4, s16
	v_add_u32_e32 v14, 1, v4
	v_sub_u32_e32 v5, v10, v5
	v_subrev_u32_e32 v15, s16, v5
	v_cmp_le_u32_e32 vcc, s16, v5
	v_cndmask_b32_e32 v5, v5, v15, vcc
	v_cndmask_b32_e32 v4, v4, v14, vcc
	v_add_u32_e32 v14, 1, v4
	v_cmp_le_u32_e32 vcc, s16, v5
	v_cndmask_b32_e32 v4, v4, v14, vcc
	v_mov_b32_e32 v5, 0
.LBB10_21:
	s_or_b64 exec, exec, s[0:1]
	v_mul_lo_u32 v16, s17, v4
	v_mul_lo_u32 v17, s16, v5
	v_mad_u64_u32 v[14:15], s[0:1], s16, v4, 0
	v_add3_u32 v15, v15, v17, v16
	v_sub_co_u32_e32 v14, vcc, v10, v14
	v_subb_co_u32_e32 v15, vcc, v11, v15, vcc
	v_or_b32_e32 v11, s41, v15
	v_mov_b32_e32 v10, 0
	v_cmp_ne_u64_e32 vcc, 0, v[10:11]
                                        ; implicit-def: $vgpr10_vgpr11
	s_and_saveexec_b64 s[0:1], vcc
	s_xor_b64 s[2:3], exec, s[0:1]
	s_cbranch_execz .LBB10_23
; %bb.22:
	s_ashr_i32 s6, s41, 31
	s_add_u32 s0, s40, s6
	s_mov_b32 s7, s6
	s_addc_u32 s1, s41, s6
	s_xor_b64 s[12:13], s[0:1], s[6:7]
	v_cvt_f32_u32_e32 v10, s12
	v_cvt_f32_u32_e32 v11, s13
	s_sub_u32 s7, 0, s12
	s_subb_u32 s16, 0, s13
	v_ashrrev_i32_e32 v18, 31, v15
	v_madmk_f32 v10, v11, 0x4f800000, v10
	v_rcp_f32_e32 v10, v10
	v_mul_f32_e32 v10, 0x5f7ffffc, v10
	v_mul_f32_e32 v11, 0x2f800000, v10
	v_trunc_f32_e32 v11, v11
	v_madmk_f32 v10, v11, 0xcf800000, v10
	v_cvt_u32_f32_e32 v11, v11
	v_cvt_u32_f32_e32 v10, v10
	v_readfirstlane_b32 s17, v11
	v_readfirstlane_b32 s0, v10
	s_mul_i32 s1, s7, s17
	s_mul_hi_u32 s19, s7, s0
	s_mul_i32 s18, s16, s0
	s_add_i32 s1, s19, s1
	s_add_i32 s1, s1, s18
	s_mul_i32 s24, s7, s0
	s_mul_i32 s19, s0, s1
	s_mul_hi_u32 s25, s0, s24
	s_mul_hi_u32 s18, s0, s1
	s_add_u32 s19, s25, s19
	s_addc_u32 s18, 0, s18
	s_mul_hi_u32 s26, s17, s24
	s_mul_i32 s24, s17, s24
	s_add_u32 s19, s19, s24
	s_mul_hi_u32 s25, s17, s1
	s_addc_u32 s18, s18, s26
	s_addc_u32 s19, s25, 0
	s_mul_i32 s1, s17, s1
	s_add_u32 s1, s18, s1
	s_addc_u32 s18, 0, s19
	s_add_u32 s19, s0, s1
	s_cselect_b64 s[0:1], -1, 0
	s_cmp_lg_u64 s[0:1], 0
	s_addc_u32 s17, s17, s18
	s_mul_i32 s0, s7, s17
	s_mul_hi_u32 s1, s7, s19
	s_add_i32 s0, s1, s0
	s_mul_i32 s16, s16, s19
	s_add_i32 s0, s0, s16
	s_mul_i32 s7, s7, s19
	s_mul_hi_u32 s16, s17, s7
	s_mul_i32 s18, s17, s7
	s_mul_i32 s25, s19, s0
	s_mul_hi_u32 s7, s19, s7
	s_mul_hi_u32 s24, s19, s0
	s_add_u32 s7, s7, s25
	s_addc_u32 s24, 0, s24
	s_add_u32 s7, s7, s18
	s_mul_hi_u32 s1, s17, s0
	s_addc_u32 s7, s24, s16
	s_addc_u32 s1, s1, 0
	s_mul_i32 s0, s17, s0
	s_add_u32 s0, s7, s0
	s_addc_u32 s7, 0, s1
	s_add_u32 s16, s19, s0
	s_cselect_b64 s[0:1], -1, 0
	s_cmp_lg_u64 s[0:1], 0
	v_add_co_u32_e32 v10, vcc, v14, v18
	s_addc_u32 s7, s17, s7
	v_xor_b32_e32 v19, v10, v18
	v_mad_u64_u32 v[10:11], s[0:1], v19, s7, 0
	v_mul_hi_u32 v17, v19, s16
	v_addc_co_u32_e32 v16, vcc, v15, v18, vcc
	v_xor_b32_e32 v20, v16, v18
	v_add_co_u32_e32 v21, vcc, v17, v10
	v_addc_co_u32_e32 v22, vcc, 0, v11, vcc
	v_mad_u64_u32 v[10:11], s[0:1], v20, s16, 0
	v_mad_u64_u32 v[16:17], s[0:1], v20, s7, 0
	v_add_co_u32_e32 v10, vcc, v21, v10
	v_addc_co_u32_e32 v10, vcc, v22, v11, vcc
	v_addc_co_u32_e32 v11, vcc, 0, v17, vcc
	v_add_co_u32_e32 v16, vcc, v10, v16
	v_addc_co_u32_e32 v17, vcc, 0, v11, vcc
	v_mul_lo_u32 v21, s13, v16
	v_mul_lo_u32 v22, s12, v17
	v_mad_u64_u32 v[10:11], s[0:1], s12, v16, 0
	v_add3_u32 v11, v11, v22, v21
	v_sub_u32_e32 v21, v20, v11
	v_mov_b32_e32 v22, s13
	v_sub_co_u32_e32 v10, vcc, v19, v10
	v_subb_co_u32_e64 v19, s[0:1], v21, v22, vcc
	v_subrev_co_u32_e64 v21, s[0:1], s12, v10
	v_subbrev_co_u32_e64 v19, s[0:1], 0, v19, s[0:1]
	v_cmp_le_u32_e64 s[0:1], s13, v19
	v_cndmask_b32_e64 v22, 0, -1, s[0:1]
	v_cmp_le_u32_e64 s[0:1], s12, v21
	v_cndmask_b32_e64 v21, 0, -1, s[0:1]
	v_cmp_eq_u32_e64 s[0:1], s13, v19
	v_cndmask_b32_e64 v19, v22, v21, s[0:1]
	v_add_co_u32_e64 v21, s[0:1], 2, v16
	v_subb_co_u32_e32 v11, vcc, v20, v11, vcc
	v_addc_co_u32_e64 v22, s[0:1], 0, v17, s[0:1]
	v_cmp_le_u32_e32 vcc, s13, v11
	v_add_co_u32_e64 v23, s[0:1], 1, v16
	v_cndmask_b32_e64 v20, 0, -1, vcc
	v_cmp_le_u32_e32 vcc, s12, v10
	v_addc_co_u32_e64 v24, s[0:1], 0, v17, s[0:1]
	v_cndmask_b32_e64 v10, 0, -1, vcc
	v_cmp_eq_u32_e32 vcc, s13, v11
	v_cmp_ne_u32_e64 s[0:1], 0, v19
	v_cndmask_b32_e32 v10, v20, v10, vcc
	v_cndmask_b32_e64 v19, v24, v22, s[0:1]
	v_cmp_ne_u32_e32 vcc, 0, v10
	v_cndmask_b32_e64 v11, v23, v21, s[0:1]
	v_cndmask_b32_e32 v10, v17, v19, vcc
	v_cndmask_b32_e32 v11, v16, v11, vcc
	v_xor_b32_e32 v16, s6, v18
	v_xor_b32_e32 v17, v10, v16
	;; [unrolled: 1-line block ×3, first 2 shown]
	v_sub_co_u32_e32 v10, vcc, v10, v16
	v_subb_co_u32_e32 v11, vcc, v17, v16, vcc
.LBB10_23:
	s_andn2_saveexec_b64 s[0:1], s[2:3]
	s_cbranch_execz .LBB10_25
; %bb.24:
	v_cvt_f32_u32_e32 v10, s40
	s_sub_i32 s2, 0, s40
	v_rcp_iflag_f32_e32 v10, v10
	v_mul_f32_e32 v10, 0x4f7ffffe, v10
	v_cvt_u32_f32_e32 v10, v10
	v_mul_lo_u32 v11, s2, v10
	v_mul_hi_u32 v11, v10, v11
	v_add_u32_e32 v10, v10, v11
	v_mul_hi_u32 v10, v14, v10
	v_mul_lo_u32 v11, v10, s40
	v_add_u32_e32 v16, 1, v10
	v_sub_u32_e32 v11, v14, v11
	v_subrev_u32_e32 v17, s40, v11
	v_cmp_le_u32_e32 vcc, s40, v11
	v_cndmask_b32_e32 v11, v11, v17, vcc
	v_cndmask_b32_e32 v10, v10, v16, vcc
	v_add_u32_e32 v16, 1, v10
	v_cmp_le_u32_e32 vcc, s40, v11
	v_cndmask_b32_e32 v10, v10, v16, vcc
	v_mov_b32_e32 v11, 0
.LBB10_25:
	s_or_b64 exec, exec, s[0:1]
	v_mul_lo_u32 v18, v9, s14
	v_mul_lo_u32 v19, v8, s15
	v_mad_u64_u32 v[16:17], s[0:1], v8, s14, 0
	v_mul_lo_u32 v9, v9, s22
	v_mul_lo_u32 v3, v3, s36
	v_add3_u32 v17, v17, v19, v18
	v_sub_co_u32_e32 v16, vcc, v12, v16
	v_subb_co_u32_e32 v17, vcc, v13, v17, vcc
	v_mov_b32_e32 v12, s8
	v_mov_b32_e32 v13, s9
	v_mul_lo_u32 v18, v16, s21
	v_mul_lo_u32 v17, v17, s20
	v_mad_u64_u32 v[12:13], s[0:1], v16, s20, v[12:13]
	v_mul_lo_u32 v1, v1, s38
	s_mov_b32 s12, 0xc2fe0000
	v_add3_u32 v13, v17, v13, v18
	v_mad_u64_u32 v[12:13], s[0:1], v8, s22, v[12:13]
	v_mul_lo_u32 v8, v8, s23
	s_load_dwordx2 s[2:3], s[4:5], 0x80
	v_mul_lo_u32 v5, v5, s50
	v_add3_u32 v13, v9, v13, v8
	v_mad_u64_u32 v[8:9], s[0:1], v2, s36, v[12:13]
	v_mul_lo_u32 v2, v2, s37
	s_waitcnt lgkmcnt(0)
	v_mul_lo_u32 v7, v7, s2
	v_add3_u32 v9, v3, v9, v2
	v_mad_u64_u32 v[2:3], s[0:1], v0, s38, v[8:9]
	v_mul_lo_u32 v0, v0, s39
	v_add3_u32 v3, v1, v3, v0
	global_load_dwordx4 v[16:19], v[2:3], off
	global_load_dwordx4 v[20:23], v[2:3], off offset:16
	global_load_dwordx4 v[24:27], v[2:3], off offset:32
	s_waitcnt vmcnt(2)
	v_cmp_lg_f32_e32 vcc, 0, v16
	v_cndmask_b32_e64 v1, 0, |v16|, vcc
	v_cndmask_b32_e32 v0, 0, v16, vcc
	v_cmp_lt_f32_e64 vcc, v1, |v17|
	v_cndmask_b32_e64 v1, v1, |v17|, vcc
	v_cndmask_b32_e32 v0, v0, v17, vcc
	v_cmp_lt_f32_e64 vcc, v1, |v18|
	v_cndmask_b32_e64 v1, v1, |v18|, vcc
	v_cndmask_b32_e32 v0, v0, v18, vcc
	v_cmp_lt_f32_e64 vcc, v1, |v19|
	v_cndmask_b32_e32 v0, v0, v19, vcc
	v_cndmask_b32_e64 v1, v1, |v19|, vcc
	global_load_dwordx4 v[16:19], v[2:3], off offset:48
	s_waitcnt vmcnt(2)
	v_cmp_lt_f32_e64 vcc, v1, |v20|
	v_cndmask_b32_e64 v1, v1, |v20|, vcc
	v_cndmask_b32_e32 v0, v0, v20, vcc
	v_cmp_lt_f32_e64 vcc, v1, |v21|
	v_cndmask_b32_e64 v1, v1, |v21|, vcc
	v_cndmask_b32_e32 v0, v0, v21, vcc
	v_cmp_lt_f32_e64 vcc, v1, |v22|
	v_cndmask_b32_e64 v1, v1, |v22|, vcc
	v_cndmask_b32_e32 v0, v0, v22, vcc
	v_cmp_lt_f32_e64 vcc, v1, |v23|
	v_cndmask_b32_e32 v0, v0, v23, vcc
	v_cndmask_b32_e64 v1, v1, |v23|, vcc
	global_load_dwordx4 v[20:23], v[2:3], off offset:64
	s_waitcnt vmcnt(2)
	v_cmp_lt_f32_e64 vcc, v1, |v24|
	;; [unrolled: 14-line block ×5, first 2 shown]
	v_cndmask_b32_e64 v1, v1, |v24|, vcc
	v_cndmask_b32_e32 v0, v0, v24, vcc
	v_cmp_lt_f32_e64 vcc, v1, |v25|
	v_cndmask_b32_e64 v1, v1, |v25|, vcc
	v_cndmask_b32_e32 v0, v0, v25, vcc
	v_cmp_lt_f32_e64 vcc, v1, |v26|
	;; [unrolled: 3-line block ×3, first 2 shown]
	v_cndmask_b32_e64 v1, v1, |v27|, vcc
	v_cndmask_b32_e32 v0, v0, v27, vcc
	s_waitcnt vmcnt(1)
	v_cmp_lt_f32_e64 vcc, v1, |v16|
	v_cndmask_b32_e64 v1, v1, |v16|, vcc
	v_cndmask_b32_e32 v0, v0, v16, vcc
	v_cmp_lt_f32_e64 vcc, v1, |v17|
	v_cndmask_b32_e64 v1, v1, |v17|, vcc
	v_cndmask_b32_e32 v0, v0, v17, vcc
	;; [unrolled: 3-line block ×4, first 2 shown]
	v_mul_lo_u32 v16, v11, s40
	s_waitcnt vmcnt(0)
	v_cmp_lt_f32_e64 vcc, v1, |v20|
	v_cndmask_b32_e64 v1, v1, |v20|, vcc
	v_cndmask_b32_e32 v0, v0, v20, vcc
	v_cmp_lt_f32_e64 vcc, v1, |v21|
	v_cndmask_b32_e64 v1, v1, |v21|, vcc
	v_cndmask_b32_e32 v0, v0, v21, vcc
	;; [unrolled: 3-line block ×3, first 2 shown]
	v_cmp_lt_f32_e64 vcc, v1, |v23|
	v_cndmask_b32_e32 v8, v0, v23, vcc
	v_div_scale_f32 v0, s[0:1], s12, s12, v8
	v_div_scale_f32 v1, vcc, v8, s12, v8
	v_mul_lo_u32 v17, v10, s41
	v_mul_lo_u32 v11, v11, s48
	v_rcp_f32_e32 v9, v0
	v_fma_f32 v12, -v0, v9, 1.0
	v_fmac_f32_e32 v9, v12, v9
	v_mul_f32_e32 v12, v1, v9
	v_fma_f32 v13, -v0, v12, v1
	v_fmac_f32_e32 v12, v13, v9
	v_fma_f32 v0, -v0, v12, v1
	v_div_fmas_f32 v9, v0, v9, v12
	v_mad_u64_u32 v[0:1], s[0:1], v10, s40, 0
	v_mov_b32_e32 v12, s10
	v_mov_b32_e32 v13, s11
	v_add3_u32 v1, v1, v17, v16
	v_sub_co_u32_e32 v0, vcc, v14, v0
	v_subb_co_u32_e32 v1, vcc, v15, v1, vcc
	v_ashrrev_i32_e32 v14, 31, v1
	v_lshrrev_b32_e32 v14, 27, v14
	s_mov_b32 s10, 0x42e20000
	v_div_fixup_f32 v8, v9, s12, v8
	v_div_scale_f32 v9, s[0:1], v8, v8, 1.0
	v_div_scale_f32 v15, vcc, 1.0, v8, 1.0
	v_add_co_u32_e64 v0, s[0:1], v0, v14
	v_addc_co_u32_e64 v1, s[0:1], 0, v1, s[0:1]
	v_ashrrev_i64 v[0:1], 5, v[0:1]
	v_mul_lo_u32 v14, v0, s47
	v_mul_lo_u32 v16, v1, s46
	v_mad_u64_u32 v[0:1], s[0:1], v0, s46, v[12:13]
	v_mul_lo_u32 v12, v10, s49
	v_rcp_f32_e32 v13, v9
	v_add3_u32 v1, v16, v1, v14
	v_mad_u64_u32 v[0:1], s[0:1], v10, s48, v[0:1]
	v_fma_f32 v10, -v9, v13, 1.0
	v_fmac_f32_e32 v13, v10, v13
	v_mul_f32_e32 v10, v15, v13
	v_fma_f32 v14, -v9, v10, v15
	v_fmac_f32_e32 v10, v14, v13
	v_fma_f32 v9, -v9, v10, v15
	v_div_fmas_f32 v9, v9, v13, v10
	v_add3_u32 v1, v11, v1, v12
	v_mul_lo_u32 v10, v4, s51
	v_mad_u64_u32 v[0:1], s[0:1], v4, s50, v[0:1]
	v_mul_lo_u32 v11, v6, s3
	s_mov_b32 s1, 0
	v_add3_u32 v1, v5, v1, v10
	v_mad_u64_u32 v[0:1], s[2:3], v6, s2, v[0:1]
	v_cmp_neq_f32_e32 vcc, 0, v8
	v_mov_b32_e32 v4, 0
	v_mov_b32_e32 v5, 0
	v_add3_u32 v1, v7, v1, v11
	s_mov_b32 s0, s1
	v_div_fixup_f32 v6, v9, v8, 1.0
	v_cndmask_b32_e32 v6, 0, v6, vcc
	s_branch .LBB10_28
.LBB10_26:                              ;   in Loop: Header=BB10_28 Depth=1
	s_or_b64 exec, exec, s[4:5]
.LBB10_27:                              ;   in Loop: Header=BB10_28 Depth=1
	s_or_b64 exec, exec, s[2:3]
	v_and_b32_e32 v11, 0xff, v10
	s_getpc_b64 s[2:3]
	s_add_u32 s2, s2, _ZL13kvalues_iq4nl@rel32@lo+4
	s_addc_u32 s3, s3, _ZL13kvalues_iq4nl@rel32@hi+12
	v_and_b32_e32 v13, 0xff, v12
	global_load_sbyte v14, v11, s[2:3]
	global_load_sbyte v15, v13, s[2:3]
	v_lshl_or_b32 v12, v12, 4, v10
	v_add_co_u32_e32 v10, vcc, s0, v0
	v_addc_co_u32_e32 v11, vcc, 0, v1, vcc
	v_mul_f32_e32 v16, v9, v9
	v_mul_f32_e32 v13, v7, v7
	global_store_byte v[10:11], v12, off offset:2
	s_add_i32 s0, s0, 1
	s_cmp_lg_u32 s0, 16
	s_waitcnt vmcnt(2)
	v_cvt_f32_i32_e32 v14, v14
	s_waitcnt vmcnt(1)
	v_cvt_f32_i32_e32 v15, v15
	v_mul_f32_e32 v10, v13, v14
	v_mul_f32_e32 v11, v16, v15
	;; [unrolled: 1-line block ×4, first 2 shown]
	v_fmac_f32_e32 v9, v7, v10
	v_fmac_f32_e32 v11, v10, v14
	v_add_f32_e32 v4, v4, v9
	v_add_f32_e32 v5, v5, v11
	s_cbranch_scc0 .LBB10_39
.LBB10_28:                              ; =>This Loop Header: Depth=1
                                        ;     Child Loop BB10_31 Depth 2
                                        ;     Child Loop BB10_37 Depth 2
	s_lshl_b64 s[2:3], s[0:1], 2
	v_mov_b32_e32 v7, s3
	v_add_co_u32_e32 v10, vcc, s2, v2
	v_addc_co_u32_e32 v11, vcc, v3, v7, vcc
	global_load_dword v7, v[10:11], off
	global_load_dword v9, v[10:11], off offset:64
	v_mov_b32_e32 v10, 0
	s_waitcnt vmcnt(1)
	v_mul_f32_e32 v11, v6, v7
	v_cmp_nge_f32_e32 vcc, s12, v11
	s_and_saveexec_b64 s[2:3], vcc
	s_cbranch_execz .LBB10_34
; %bb.29:                               ;   in Loop: Header=BB10_28 Depth=1
	v_cmp_nle_f32_e32 vcc, s10, v11
	v_mov_b32_e32 v10, 15
	s_and_saveexec_b64 s[4:5], vcc
	s_cbranch_execz .LBB10_33
; %bb.30:                               ;   in Loop: Header=BB10_28 Depth=1
	v_mov_b32_e32 v12, 0
	v_mov_b32_e32 v10, 15
	s_mov_b64 s[6:7], 0
.LBB10_31:                              ;   Parent Loop BB10_28 Depth=1
                                        ; =>  This Inner Loop Header: Depth=2
	v_add_u32_e32 v13, v12, v10
	v_lshrrev_b32_e32 v14, 31, v13
	v_add_u32_e32 v13, v13, v14
	s_getpc_b64 s[8:9]
	s_add_u32 s8, s8, _ZL13kvalues_iq4nl@rel32@lo+4
	s_addc_u32 s9, s9, _ZL13kvalues_iq4nl@rel32@hi+12
	v_ashrrev_i32_e32 v16, 1, v13
	v_mov_b32_e32 v15, s9
	v_ashrrev_i32_e32 v14, 31, v16
	v_add_co_u32_e32 v13, vcc, s8, v16
	v_addc_co_u32_e32 v14, vcc, v15, v14, vcc
	global_load_sbyte v13, v[13:14], off
	s_waitcnt vmcnt(0)
	v_cvt_f32_i32_e32 v13, v13
	v_cmp_lt_f32_e32 vcc, v11, v13
	v_cndmask_b32_e32 v12, v16, v12, vcc
	v_cndmask_b32_e32 v10, v10, v16, vcc
	v_sub_u32_e32 v13, v10, v12
	v_cmp_gt_i32_e32 vcc, 2, v13
	s_or_b64 s[6:7], vcc, s[6:7]
	s_andn2_b64 exec, exec, s[6:7]
	s_cbranch_execnz .LBB10_31
; %bb.32:                               ;   in Loop: Header=BB10_28 Depth=1
	s_or_b64 exec, exec, s[6:7]
	v_add_u32_e32 v16, -1, v10
	v_ashrrev_i32_e32 v13, 31, v16
	v_mov_b32_e32 v15, s9
	v_add_co_u32_e32 v12, vcc, s8, v16
	v_addc_co_u32_e32 v13, vcc, v15, v13, vcc
	v_ashrrev_i32_e32 v17, 31, v10
	v_add_co_u32_e32 v14, vcc, s8, v10
	v_addc_co_u32_e32 v15, vcc, v15, v17, vcc
	global_load_sbyte v17, v[12:13], off
	global_load_sbyte v18, v[14:15], off
	s_waitcnt vmcnt(1)
	v_cvt_f32_i32_e32 v12, v17
	s_waitcnt vmcnt(0)
	v_cvt_f32_i32_e32 v13, v18
	v_sub_f32_e32 v12, v11, v12
	v_sub_f32_e32 v11, v13, v11
	v_cmp_lt_f32_e32 vcc, v12, v11
	v_cndmask_b32_e32 v10, v10, v16, vcc
.LBB10_33:                              ;   in Loop: Header=BB10_28 Depth=1
	s_or_b64 exec, exec, s[4:5]
.LBB10_34:                              ;   in Loop: Header=BB10_28 Depth=1
	s_or_b64 exec, exec, s[2:3]
	s_waitcnt vmcnt(0)
	v_mul_f32_e32 v11, v6, v9
	v_cmp_nge_f32_e32 vcc, s12, v11
	v_mov_b32_e32 v12, 0
	s_and_saveexec_b64 s[2:3], vcc
	s_cbranch_execz .LBB10_27
; %bb.35:                               ;   in Loop: Header=BB10_28 Depth=1
	v_cmp_nle_f32_e32 vcc, s10, v11
	v_mov_b32_e32 v12, 15
	s_and_saveexec_b64 s[4:5], vcc
	s_cbranch_execz .LBB10_26
; %bb.36:                               ;   in Loop: Header=BB10_28 Depth=1
	v_mov_b32_e32 v13, 0
	v_mov_b32_e32 v12, 15
	s_mov_b64 s[6:7], 0
.LBB10_37:                              ;   Parent Loop BB10_28 Depth=1
                                        ; =>  This Inner Loop Header: Depth=2
	v_add_u32_e32 v14, v13, v12
	v_lshrrev_b32_e32 v15, 31, v14
	v_add_u32_e32 v14, v14, v15
	s_getpc_b64 s[8:9]
	s_add_u32 s8, s8, _ZL13kvalues_iq4nl@rel32@lo+4
	s_addc_u32 s9, s9, _ZL13kvalues_iq4nl@rel32@hi+12
	v_ashrrev_i32_e32 v17, 1, v14
	v_mov_b32_e32 v16, s9
	v_ashrrev_i32_e32 v15, 31, v17
	v_add_co_u32_e32 v14, vcc, s8, v17
	v_addc_co_u32_e32 v15, vcc, v16, v15, vcc
	global_load_sbyte v14, v[14:15], off
	s_waitcnt vmcnt(0)
	v_cvt_f32_i32_e32 v14, v14
	v_cmp_lt_f32_e32 vcc, v11, v14
	v_cndmask_b32_e32 v13, v17, v13, vcc
	v_cndmask_b32_e32 v12, v12, v17, vcc
	v_sub_u32_e32 v14, v12, v13
	v_cmp_gt_i32_e32 vcc, 2, v14
	s_or_b64 s[6:7], vcc, s[6:7]
	s_andn2_b64 exec, exec, s[6:7]
	s_cbranch_execnz .LBB10_37
; %bb.38:                               ;   in Loop: Header=BB10_28 Depth=1
	s_or_b64 exec, exec, s[6:7]
	v_add_u32_e32 v17, -1, v12
	v_ashrrev_i32_e32 v14, 31, v17
	v_mov_b32_e32 v16, s9
	v_add_co_u32_e32 v13, vcc, s8, v17
	v_addc_co_u32_e32 v14, vcc, v16, v14, vcc
	v_ashrrev_i32_e32 v18, 31, v12
	v_add_co_u32_e32 v15, vcc, s8, v12
	v_addc_co_u32_e32 v16, vcc, v16, v18, vcc
	global_load_sbyte v18, v[13:14], off
	global_load_sbyte v19, v[15:16], off
	s_waitcnt vmcnt(1)
	v_cvt_f32_i32_e32 v13, v18
	s_waitcnt vmcnt(0)
	v_cvt_f32_i32_e32 v14, v19
	v_sub_f32_e32 v13, v11, v13
	v_sub_f32_e32 v11, v14, v11
	v_cmp_lt_f32_e32 vcc, v13, v11
	v_cndmask_b32_e32 v12, v12, v17, vcc
	s_branch .LBB10_26
.LBB10_39:
	v_div_scale_f32 v2, s[0:1], v5, v5, v4
	v_div_scale_f32 v3, vcc, v4, v5, v4
	v_rcp_f32_e32 v6, v2
	v_fma_f32 v7, -v2, v6, 1.0
	v_fmac_f32_e32 v6, v7, v6
	v_mul_f32_e32 v7, v3, v6
	v_fma_f32 v9, -v2, v7, v3
	v_fmac_f32_e32 v7, v9, v6
	v_fma_f32 v2, -v2, v7, v3
	v_div_fmas_f32 v2, v2, v6, v7
	v_cmp_lt_f32_e32 vcc, 0, v5
	v_div_fixup_f32 v2, v2, v5, v4
	v_cndmask_b32_e32 v2, v8, v2, vcc
	v_cvt_f16_f32_e32 v2, v2
	global_store_short v[0:1], v2, off
.LBB10_40:
	s_endpgm
	.section	.rodata,"a",@progbits
	.p2align	6, 0x0
	.amdhsa_kernel _ZL9cpy_f32_qIXadL_ZL19cpy_blck_f32_iq4_nlPKcPcEELi32EEvS1_S2_lllllllllllllll
		.amdhsa_group_segment_fixed_size 0
		.amdhsa_private_segment_fixed_size 0
		.amdhsa_kernarg_size 392
		.amdhsa_user_sgpr_count 6
		.amdhsa_user_sgpr_private_segment_buffer 1
		.amdhsa_user_sgpr_dispatch_ptr 0
		.amdhsa_user_sgpr_queue_ptr 0
		.amdhsa_user_sgpr_kernarg_segment_ptr 1
		.amdhsa_user_sgpr_dispatch_id 0
		.amdhsa_user_sgpr_flat_scratch_init 0
		.amdhsa_user_sgpr_private_segment_size 0
		.amdhsa_uses_dynamic_stack 0
		.amdhsa_system_sgpr_private_segment_wavefront_offset 0
		.amdhsa_system_sgpr_workgroup_id_x 1
		.amdhsa_system_sgpr_workgroup_id_y 0
		.amdhsa_system_sgpr_workgroup_id_z 0
		.amdhsa_system_sgpr_workgroup_info 0
		.amdhsa_system_vgpr_workitem_id 0
		.amdhsa_next_free_vgpr 28
		.amdhsa_next_free_sgpr 52
		.amdhsa_reserve_vcc 1
		.amdhsa_reserve_flat_scratch 0
		.amdhsa_float_round_mode_32 0
		.amdhsa_float_round_mode_16_64 0
		.amdhsa_float_denorm_mode_32 3
		.amdhsa_float_denorm_mode_16_64 3
		.amdhsa_dx10_clamp 1
		.amdhsa_ieee_mode 1
		.amdhsa_fp16_overflow 0
		.amdhsa_exception_fp_ieee_invalid_op 0
		.amdhsa_exception_fp_denorm_src 0
		.amdhsa_exception_fp_ieee_div_zero 0
		.amdhsa_exception_fp_ieee_overflow 0
		.amdhsa_exception_fp_ieee_underflow 0
		.amdhsa_exception_fp_ieee_inexact 0
		.amdhsa_exception_int_div_zero 0
	.end_amdhsa_kernel
	.section	.text._ZL9cpy_f32_qIXadL_ZL19cpy_blck_f32_iq4_nlPKcPcEELi32EEvS1_S2_lllllllllllllll,"axG",@progbits,_ZL9cpy_f32_qIXadL_ZL19cpy_blck_f32_iq4_nlPKcPcEELi32EEvS1_S2_lllllllllllllll,comdat
.Lfunc_end10:
	.size	_ZL9cpy_f32_qIXadL_ZL19cpy_blck_f32_iq4_nlPKcPcEELi32EEvS1_S2_lllllllllllllll, .Lfunc_end10-_ZL9cpy_f32_qIXadL_ZL19cpy_blck_f32_iq4_nlPKcPcEELi32EEvS1_S2_lllllllllllllll
                                        ; -- End function
	.set _ZL9cpy_f32_qIXadL_ZL19cpy_blck_f32_iq4_nlPKcPcEELi32EEvS1_S2_lllllllllllllll.num_vgpr, 28
	.set _ZL9cpy_f32_qIXadL_ZL19cpy_blck_f32_iq4_nlPKcPcEELi32EEvS1_S2_lllllllllllllll.num_agpr, 0
	.set _ZL9cpy_f32_qIXadL_ZL19cpy_blck_f32_iq4_nlPKcPcEELi32EEvS1_S2_lllllllllllllll.numbered_sgpr, 52
	.set _ZL9cpy_f32_qIXadL_ZL19cpy_blck_f32_iq4_nlPKcPcEELi32EEvS1_S2_lllllllllllllll.num_named_barrier, 0
	.set _ZL9cpy_f32_qIXadL_ZL19cpy_blck_f32_iq4_nlPKcPcEELi32EEvS1_S2_lllllllllllllll.private_seg_size, 0
	.set _ZL9cpy_f32_qIXadL_ZL19cpy_blck_f32_iq4_nlPKcPcEELi32EEvS1_S2_lllllllllllllll.uses_vcc, 1
	.set _ZL9cpy_f32_qIXadL_ZL19cpy_blck_f32_iq4_nlPKcPcEELi32EEvS1_S2_lllllllllllllll.uses_flat_scratch, 0
	.set _ZL9cpy_f32_qIXadL_ZL19cpy_blck_f32_iq4_nlPKcPcEELi32EEvS1_S2_lllllllllllllll.has_dyn_sized_stack, 0
	.set _ZL9cpy_f32_qIXadL_ZL19cpy_blck_f32_iq4_nlPKcPcEELi32EEvS1_S2_lllllllllllllll.has_recursion, 0
	.set _ZL9cpy_f32_qIXadL_ZL19cpy_blck_f32_iq4_nlPKcPcEELi32EEvS1_S2_lllllllllllllll.has_indirect_call, 0
	.section	.AMDGPU.csdata,"",@progbits
; Kernel info:
; codeLenInByte = 6888
; TotalNumSgprs: 56
; NumVgprs: 28
; ScratchSize: 0
; MemoryBound: 0
; FloatMode: 240
; IeeeMode: 1
; LDSByteSize: 0 bytes/workgroup (compile time only)
; SGPRBlocks: 6
; VGPRBlocks: 6
; NumSGPRsForWavesPerEU: 56
; NumVGPRsForWavesPerEU: 28
; Occupancy: 9
; WaveLimiterHint : 0
; COMPUTE_PGM_RSRC2:SCRATCH_EN: 0
; COMPUTE_PGM_RSRC2:USER_SGPR: 6
; COMPUTE_PGM_RSRC2:TRAP_HANDLER: 0
; COMPUTE_PGM_RSRC2:TGID_X_EN: 1
; COMPUTE_PGM_RSRC2:TGID_Y_EN: 0
; COMPUTE_PGM_RSRC2:TGID_Z_EN: 0
; COMPUTE_PGM_RSRC2:TIDIG_COMP_CNT: 0
	.section	.text._ZL20cpy_scalar_transposeIfEvPKcPclllllllllllllll,"axG",@progbits,_ZL20cpy_scalar_transposeIfEvPKcPclllllllllllllll,comdat
	.globl	_ZL20cpy_scalar_transposeIfEvPKcPclllllllllllllll ; -- Begin function _ZL20cpy_scalar_transposeIfEvPKcPclllllllllllllll
	.p2align	8
	.type	_ZL20cpy_scalar_transposeIfEvPKcPclllllllllllllll,@function
_ZL20cpy_scalar_transposeIfEvPKcPclllllllllllllll: ; @_ZL20cpy_scalar_transposeIfEvPKcPclllllllllllllll
; %bb.0:
	s_load_dwordx8 s[12:19], s[4:5], 0x0
	s_load_dwordx2 s[10:11], s[4:5], 0x20
	s_waitcnt lgkmcnt(0)
	s_mul_i32 s0, s10, s19
	s_mul_hi_u32 s1, s10, s18
	s_add_i32 s0, s1, s0
	s_mul_i32 s1, s11, s18
	s_add_i32 s21, s0, s1
	s_mul_i32 s20, s10, s18
	s_or_b64 s[0:1], s[16:17], s[20:21]
	s_mov_b32 s0, 0
	s_cmp_lg_u64 s[0:1], 0
	s_cbranch_scc0 .LBB11_127
; %bb.1:
	s_ashr_i32 s0, s21, 31
	s_add_u32 s2, s20, s0
	s_mov_b32 s1, s0
	s_addc_u32 s3, s21, s0
	s_xor_b64 s[4:5], s[2:3], s[0:1]
	v_cvt_f32_u32_e32 v2, s4
	v_cvt_f32_u32_e32 v3, s5
	s_sub_u32 s9, 0, s4
	s_subb_u32 s24, 0, s5
	v_madmk_f32 v2, v3, 0x4f800000, v2
	v_rcp_f32_e32 v2, v2
	v_mul_f32_e32 v2, 0x5f7ffffc, v2
	v_mul_f32_e32 v3, 0x2f800000, v2
	v_trunc_f32_e32 v3, v3
	v_madmk_f32 v2, v3, 0xcf800000, v2
	v_cvt_u32_f32_e32 v3, v3
	v_cvt_u32_f32_e32 v2, v2
	v_readfirstlane_b32 s25, v3
	v_readfirstlane_b32 s22, v2
	s_mul_i32 s23, s9, s25
	s_mul_hi_u32 s27, s9, s22
	s_mul_i32 s26, s24, s22
	s_add_i32 s23, s27, s23
	s_add_i32 s23, s23, s26
	s_mul_i32 s28, s9, s22
	s_mul_i32 s27, s22, s23
	s_mul_hi_u32 s29, s22, s28
	s_mul_hi_u32 s26, s22, s23
	s_add_u32 s27, s29, s27
	s_addc_u32 s26, 0, s26
	s_mul_hi_u32 s30, s25, s28
	s_mul_i32 s28, s25, s28
	s_add_u32 s27, s27, s28
	s_mul_hi_u32 s29, s25, s23
	s_addc_u32 s26, s26, s30
	s_addc_u32 s27, s29, 0
	s_mul_i32 s23, s25, s23
	s_add_u32 s23, s26, s23
	s_addc_u32 s26, 0, s27
	s_add_u32 s27, s22, s23
	s_cselect_b64 s[22:23], -1, 0
	s_cmp_lg_u64 s[22:23], 0
	s_addc_u32 s25, s25, s26
	s_mul_i32 s22, s9, s25
	s_mul_hi_u32 s23, s9, s27
	s_add_i32 s22, s23, s22
	s_mul_i32 s24, s24, s27
	s_add_i32 s22, s22, s24
	s_mul_i32 s9, s9, s27
	s_mul_hi_u32 s24, s25, s9
	s_mul_i32 s26, s25, s9
	s_mul_i32 s29, s27, s22
	s_mul_hi_u32 s9, s27, s9
	s_mul_hi_u32 s28, s27, s22
	s_add_u32 s9, s9, s29
	s_addc_u32 s28, 0, s28
	s_add_u32 s9, s9, s26
	s_mul_hi_u32 s23, s25, s22
	s_addc_u32 s9, s28, s24
	s_addc_u32 s23, s23, 0
	s_mul_i32 s22, s25, s22
	s_add_u32 s9, s9, s22
	s_addc_u32 s24, 0, s23
	s_add_u32 s9, s27, s9
	s_cselect_b64 s[22:23], -1, 0
	s_cmp_lg_u64 s[22:23], 0
	s_addc_u32 s26, s25, s24
	s_ashr_i32 s22, s17, 31
	s_add_u32 s24, s16, s22
	s_mov_b32 s23, s22
	s_addc_u32 s25, s17, s22
	s_xor_b64 s[24:25], s[24:25], s[22:23]
	s_mul_i32 s27, s24, s26
	s_mul_hi_u32 s28, s24, s9
	s_mul_hi_u32 s17, s24, s26
	s_add_u32 s27, s28, s27
	s_addc_u32 s17, 0, s17
	s_mul_hi_u32 s29, s25, s9
	s_mul_i32 s9, s25, s9
	s_add_u32 s9, s27, s9
	s_mul_hi_u32 s28, s25, s26
	s_addc_u32 s9, s17, s29
	s_addc_u32 s17, s28, 0
	s_mul_i32 s26, s25, s26
	s_add_u32 s9, s9, s26
	s_addc_u32 s17, 0, s17
	s_mul_i32 s26, s4, s17
	s_mul_hi_u32 s27, s4, s9
	s_add_i32 s26, s27, s26
	s_mul_i32 s27, s5, s9
	s_add_i32 s30, s26, s27
	s_sub_i32 s28, s25, s30
	s_mul_i32 s26, s4, s9
	s_sub_u32 s24, s24, s26
	s_cselect_b64 s[26:27], -1, 0
	s_cmp_lg_u64 s[26:27], 0
	s_subb_u32 s31, s28, s5
	s_sub_u32 s33, s24, s4
	s_cselect_b64 s[28:29], -1, 0
	s_cmp_lg_u64 s[28:29], 0
	s_subb_u32 s28, s31, 0
	s_cmp_ge_u32 s28, s5
	s_cselect_b32 s29, -1, 0
	s_cmp_ge_u32 s33, s4
	s_cselect_b32 s31, -1, 0
	s_cmp_eq_u32 s28, s5
	s_cselect_b32 s28, s31, s29
	s_add_u32 s29, s9, 1
	s_addc_u32 s31, s17, 0
	s_add_u32 s33, s9, 2
	s_addc_u32 s34, s17, 0
	s_cmp_lg_u32 s28, 0
	s_cselect_b32 s28, s33, s29
	s_cselect_b32 s29, s34, s31
	s_cmp_lg_u64 s[26:27], 0
	s_subb_u32 s25, s25, s30
	s_cmp_ge_u32 s25, s5
	s_cselect_b32 s26, -1, 0
	s_cmp_ge_u32 s24, s4
	s_cselect_b32 s4, -1, 0
	s_cmp_eq_u32 s25, s5
	s_cselect_b32 s4, s4, s26
	s_cmp_lg_u32 s4, 0
	s_cselect_b32 s5, s29, s17
	s_cselect_b32 s4, s28, s9
	s_xor_b64 s[0:1], s[22:23], s[0:1]
	s_xor_b64 s[4:5], s[4:5], s[0:1]
	s_sub_u32 s22, s4, s0
	s_subb_u32 s23, s5, s1
	s_cbranch_execnz .LBB11_3
.LBB11_2:
	v_cvt_f32_u32_e32 v2, s20
	s_sub_i32 s0, 0, s20
	s_mov_b32 s23, 0
	v_rcp_iflag_f32_e32 v2, v2
	v_mul_f32_e32 v2, 0x4f7ffffe, v2
	v_cvt_u32_f32_e32 v2, v2
	v_readfirstlane_b32 s1, v2
	s_mul_i32 s0, s0, s1
	s_mul_hi_u32 s0, s1, s0
	s_add_i32 s1, s1, s0
	s_mul_hi_u32 s0, s16, s1
	s_mul_i32 s2, s0, s20
	s_sub_i32 s2, s16, s2
	s_add_i32 s1, s0, 1
	s_sub_i32 s3, s2, s20
	s_cmp_ge_u32 s2, s20
	s_cselect_b32 s0, s1, s0
	s_cselect_b32 s2, s3, s2
	s_add_i32 s1, s0, 1
	s_cmp_ge_u32 s2, s20
	s_cselect_b32 s22, s1, s0
.LBB11_3:
	s_lshl_b32 s8, s8, 3
	s_mov_b32 s9, 0
	v_mov_b32_e32 v2, s8
	v_mov_b32_e32 v3, s9
	v_cmp_le_i64_e32 vcc, s[22:23], v[2:3]
	s_cbranch_vccnz .LBB11_126
; %bb.4:
	s_lshl_b32 s9, s6, 5
	v_add_u32_e32 v3, s9, v0
	v_lshlrev_b32_e32 v4, 2, v0
	s_movk_i32 s0, 0x84
	v_mad_u32_u24 v12, v1, s0, v4
	v_ashrrev_i32_e32 v4, 31, v3
	v_cmp_gt_i64_e64 s[0:1], s[10:11], v[3:4]
	v_lshlrev_b64 v[3:4], 2, v[3:4]
	s_lshl_b32 s16, s7, 5
	v_mov_b32_e32 v5, s13
	v_add_co_u32_e32 v14, vcc, s12, v3
	s_mul_i32 s2, s21, s8
	s_mul_hi_u32 s3, s20, s8
	v_add_u32_e32 v2, s16, v1
	v_addc_co_u32_e32 v15, vcc, v5, v4, vcc
	s_add_i32 s7, s3, s2
	s_mul_i32 s6, s20, s8
	s_and_saveexec_b64 s[4:5], s[0:1]
	s_cbranch_execz .LBB11_13
; %bb.5:
	s_lshl_b64 s[2:3], s[6:7], 2
	v_ashrrev_i32_e32 v3, 31, v2
	v_mov_b32_e32 v4, s3
	v_cmp_gt_i64_e32 vcc, s[18:19], v[2:3]
	v_add_co_u32_e64 v5, s[2:3], s2, v14
	v_addc_co_u32_e64 v6, s[2:3], v15, v4, s[2:3]
	s_and_saveexec_b64 s[2:3], vcc
	s_cbranch_execz .LBB11_7
; %bb.6:
	v_mul_lo_u32 v7, s11, v2
	v_mul_lo_u32 v8, s10, v3
	v_mad_u64_u32 v[3:4], s[12:13], s10, v2, 0
	v_add3_u32 v4, v4, v8, v7
	v_lshlrev_b64 v[3:4], 2, v[3:4]
	v_add_co_u32_e32 v3, vcc, v5, v3
	v_addc_co_u32_e32 v4, vcc, v6, v4, vcc
	global_load_dword v3, v[3:4], off
	s_waitcnt vmcnt(0)
	ds_write_b32 v12, v3
.LBB11_7:
	s_or_b64 exec, exec, s[2:3]
	v_add_u32_e32 v3, 8, v2
	v_ashrrev_i32_e32 v4, 31, v3
	v_cmp_gt_i64_e32 vcc, s[18:19], v[3:4]
	s_and_saveexec_b64 s[2:3], vcc
	s_cbranch_execz .LBB11_9
; %bb.8:
	v_mul_lo_u32 v7, s11, v3
	v_mul_lo_u32 v8, s10, v4
	v_mad_u64_u32 v[3:4], s[12:13], s10, v3, 0
	v_add3_u32 v4, v4, v8, v7
	v_lshlrev_b64 v[3:4], 2, v[3:4]
	v_add_co_u32_e32 v3, vcc, v5, v3
	v_addc_co_u32_e32 v4, vcc, v6, v4, vcc
	global_load_dword v3, v[3:4], off
	s_waitcnt vmcnt(0)
	ds_write_b32 v12, v3 offset:1056
.LBB11_9:
	s_or_b64 exec, exec, s[2:3]
	v_add_u32_e32 v3, 16, v2
	v_ashrrev_i32_e32 v4, 31, v3
	v_cmp_gt_i64_e32 vcc, s[18:19], v[3:4]
	s_and_saveexec_b64 s[2:3], vcc
	s_cbranch_execz .LBB11_11
; %bb.10:
	v_mul_lo_u32 v7, s11, v3
	v_mul_lo_u32 v8, s10, v4
	v_mad_u64_u32 v[3:4], s[12:13], s10, v3, 0
	v_add3_u32 v4, v4, v8, v7
	v_lshlrev_b64 v[3:4], 2, v[3:4]
	v_add_co_u32_e32 v3, vcc, v5, v3
	v_addc_co_u32_e32 v4, vcc, v6, v4, vcc
	global_load_dword v3, v[3:4], off
	s_waitcnt vmcnt(0)
	ds_write_b32 v12, v3 offset:2112
.LBB11_11:
	s_or_b64 exec, exec, s[2:3]
	v_add_u32_e32 v3, 24, v2
	v_ashrrev_i32_e32 v4, 31, v3
	v_cmp_gt_i64_e32 vcc, s[18:19], v[3:4]
	s_and_b64 exec, exec, vcc
	s_cbranch_execz .LBB11_13
; %bb.12:
	v_mul_lo_u32 v7, s11, v3
	v_mul_lo_u32 v8, s10, v4
	v_mad_u64_u32 v[3:4], s[2:3], s10, v3, 0
	v_add3_u32 v4, v4, v8, v7
	v_lshlrev_b64 v[3:4], 2, v[3:4]
	v_add_co_u32_e32 v3, vcc, v5, v3
	v_addc_co_u32_e32 v4, vcc, v6, v4, vcc
	global_load_dword v3, v[3:4], off
	s_waitcnt vmcnt(0)
	ds_write_b32 v12, v3 offset:3168
.LBB11_13:
	s_or_b64 exec, exec, s[4:5]
	v_add_u32_e32 v5, s16, v0
	v_add_u32_e32 v4, s9, v1
	v_lshlrev_b32_e32 v1, 2, v1
	s_movk_i32 s2, 0x84
	v_ashrrev_i32_e32 v6, 31, v5
	v_mad_u32_u24 v13, v0, s2, v1
	v_lshlrev_b64 v[0:1], 2, v[5:6]
	v_mov_b32_e32 v3, s15
	v_add_co_u32_e64 v16, s[4:5], s14, v0
	v_cmp_le_i64_e32 vcc, s[18:19], v[5:6]
	v_cmp_gt_i64_e64 s[2:3], s[18:19], v[5:6]
	v_addc_co_u32_e64 v17, s[4:5], v3, v1, s[4:5]
	v_ashrrev_i32_e32 v5, 31, v4
	s_lshl_b64 s[6:7], s[6:7], 2
	v_cmp_gt_i64_e64 s[4:5], s[10:11], v[4:5]
	v_mov_b32_e32 v0, s7
	v_add_co_u32_e64 v3, s[6:7], s6, v16
	v_addc_co_u32_e64 v10, s[6:7], v17, v0, s[6:7]
	s_and_b64 s[4:5], s[4:5], s[2:3]
	s_waitcnt lgkmcnt(0)
	s_barrier
	s_and_saveexec_b64 s[6:7], s[4:5]
	s_cbranch_execz .LBB11_15
; %bb.14:
	v_mul_lo_u32 v6, s19, v4
	v_mul_lo_u32 v7, s18, v5
	v_mad_u64_u32 v[0:1], s[2:3], s18, v4, 0
	ds_read_b32 v8, v13
	v_add3_u32 v1, v1, v7, v6
	v_lshlrev_b64 v[0:1], 2, v[0:1]
	v_add_co_u32_e64 v0, s[2:3], v3, v0
	v_addc_co_u32_e64 v1, s[2:3], v10, v1, s[2:3]
	s_waitcnt lgkmcnt(0)
	global_store_dword v[0:1], v8, off
.LBB11_15:
	s_or_b64 exec, exec, s[6:7]
	v_add_u32_e32 v0, 8, v4
	v_ashrrev_i32_e32 v1, 31, v0
	v_cmp_gt_i64_e64 s[2:3], s[10:11], v[0:1]
	s_xor_b64 s[14:15], vcc, -1
	s_and_b64 s[6:7], s[2:3], s[14:15]
	s_and_saveexec_b64 s[2:3], s[6:7]
	s_cbranch_execz .LBB11_17
; %bb.16:
	v_mul_lo_u32 v8, s19, v0
	v_mul_lo_u32 v9, s18, v1
	v_mad_u64_u32 v[6:7], s[12:13], s18, v0, 0
	ds_read_b32 v11, v13 offset:32
	v_add3_u32 v7, v7, v9, v8
	v_lshlrev_b64 v[6:7], 2, v[6:7]
	v_add_co_u32_e32 v6, vcc, v3, v6
	v_addc_co_u32_e32 v7, vcc, v10, v7, vcc
	s_waitcnt lgkmcnt(0)
	global_store_dword v[6:7], v11, off
.LBB11_17:
	s_or_b64 exec, exec, s[2:3]
	v_add_u32_e32 v6, 16, v4
	v_ashrrev_i32_e32 v7, 31, v6
	v_cmp_gt_i64_e32 vcc, s[10:11], v[6:7]
	s_and_b64 s[12:13], vcc, s[14:15]
	s_and_saveexec_b64 s[2:3], s[12:13]
	s_cbranch_execz .LBB11_19
; %bb.18:
	v_mul_lo_u32 v11, s19, v6
	v_mul_lo_u32 v18, s18, v7
	v_mad_u64_u32 v[8:9], s[16:17], s18, v6, 0
	ds_read_b32 v19, v13 offset:64
	v_add3_u32 v9, v9, v18, v11
	v_lshlrev_b64 v[8:9], 2, v[8:9]
	v_add_co_u32_e32 v8, vcc, v3, v8
	v_addc_co_u32_e32 v9, vcc, v10, v9, vcc
	s_waitcnt lgkmcnt(0)
	global_store_dword v[8:9], v19, off
.LBB11_19:
	s_or_b64 exec, exec, s[2:3]
	v_add_u32_e32 v8, 24, v4
	v_ashrrev_i32_e32 v9, 31, v8
	v_cmp_gt_i64_e32 vcc, s[10:11], v[8:9]
	s_and_b64 s[14:15], vcc, s[14:15]
	s_and_saveexec_b64 s[2:3], s[14:15]
	s_cbranch_execz .LBB11_21
; %bb.20:
	v_mul_lo_u32 v11, s19, v8
	v_mul_lo_u32 v20, s18, v9
	v_mad_u64_u32 v[18:19], s[16:17], s18, v8, 0
	ds_read_b32 v21, v13 offset:96
	v_add3_u32 v19, v19, v20, v11
	v_lshlrev_b64 v[18:19], 2, v[18:19]
	v_add_co_u32_e32 v18, vcc, v3, v18
	v_addc_co_u32_e32 v19, vcc, v10, v19, vcc
	s_waitcnt lgkmcnt(0)
	global_store_dword v[18:19], v21, off
.LBB11_21:
	s_or_b64 exec, exec, s[2:3]
	s_mov_b32 s3, 0
	s_or_b32 s2, s8, 1
	v_mov_b32_e32 v11, s3
	v_mov_b32_e32 v10, s2
	v_cmp_le_u64_e32 vcc, s[22:23], v[10:11]
	s_cbranch_vccnz .LBB11_126
; %bb.22:
	s_mul_i32 s3, s21, s2
	s_mul_hi_u32 s9, s20, s2
	s_add_i32 s17, s9, s3
	s_mul_i32 s16, s20, s2
	s_and_saveexec_b64 s[24:25], s[0:1]
	s_cbranch_execz .LBB11_31
; %bb.23:
	s_lshl_b64 s[2:3], s[16:17], 2
	v_ashrrev_i32_e32 v3, 31, v2
	v_mov_b32_e32 v10, s3
	v_cmp_gt_i64_e32 vcc, s[18:19], v[2:3]
	v_add_co_u32_e64 v18, s[2:3], s2, v14
	v_addc_co_u32_e64 v19, s[2:3], v15, v10, s[2:3]
	s_and_saveexec_b64 s[2:3], vcc
	s_cbranch_execz .LBB11_25
; %bb.24:
	v_mul_lo_u32 v20, s11, v2
	v_mul_lo_u32 v3, s10, v3
	v_mad_u64_u32 v[10:11], s[26:27], s10, v2, 0
	v_add3_u32 v11, v11, v3, v20
	v_lshlrev_b64 v[10:11], 2, v[10:11]
	v_add_co_u32_e32 v10, vcc, v18, v10
	v_addc_co_u32_e32 v11, vcc, v19, v11, vcc
	global_load_dword v3, v[10:11], off
	s_waitcnt vmcnt(0)
	ds_write_b32 v12, v3 offset:4224
.LBB11_25:
	s_or_b64 exec, exec, s[2:3]
	v_add_u32_e32 v10, 8, v2
	v_ashrrev_i32_e32 v11, 31, v10
	v_cmp_gt_i64_e32 vcc, s[18:19], v[10:11]
	s_and_saveexec_b64 s[2:3], vcc
	s_cbranch_execz .LBB11_27
; %bb.26:
	v_mul_lo_u32 v3, s11, v10
	v_mul_lo_u32 v20, s10, v11
	v_mad_u64_u32 v[10:11], s[26:27], s10, v10, 0
	v_add3_u32 v11, v11, v20, v3
	v_lshlrev_b64 v[10:11], 2, v[10:11]
	v_add_co_u32_e32 v10, vcc, v18, v10
	v_addc_co_u32_e32 v11, vcc, v19, v11, vcc
	global_load_dword v3, v[10:11], off
	s_waitcnt vmcnt(0)
	ds_write_b32 v12, v3 offset:5280
.LBB11_27:
	s_or_b64 exec, exec, s[2:3]
	v_add_u32_e32 v10, 16, v2
	v_ashrrev_i32_e32 v11, 31, v10
	v_cmp_gt_i64_e32 vcc, s[18:19], v[10:11]
	;; [unrolled: 18-line block ×3, first 2 shown]
	s_and_b64 exec, exec, vcc
	s_cbranch_execz .LBB11_31
; %bb.30:
	v_mul_lo_u32 v3, s11, v10
	v_mul_lo_u32 v20, s10, v11
	v_mad_u64_u32 v[10:11], s[2:3], s10, v10, 0
	v_add3_u32 v11, v11, v20, v3
	v_lshlrev_b64 v[10:11], 2, v[10:11]
	v_add_co_u32_e32 v10, vcc, v18, v10
	v_addc_co_u32_e32 v11, vcc, v19, v11, vcc
	global_load_dword v3, v[10:11], off
	s_waitcnt vmcnt(0)
	ds_write_b32 v12, v3 offset:7392
.LBB11_31:
	s_or_b64 exec, exec, s[24:25]
	s_lshl_b64 s[2:3], s[16:17], 2
	v_mov_b32_e32 v10, s3
	v_add_co_u32_e32 v3, vcc, s2, v16
	v_addc_co_u32_e32 v10, vcc, v17, v10, vcc
	s_waitcnt vmcnt(0) lgkmcnt(0)
	s_barrier
	s_and_saveexec_b64 s[2:3], s[4:5]
	s_cbranch_execnz .LBB11_128
; %bb.32:
	s_or_b64 exec, exec, s[2:3]
	s_and_saveexec_b64 s[2:3], s[6:7]
	s_cbranch_execnz .LBB11_129
.LBB11_33:
	s_or_b64 exec, exec, s[2:3]
	s_and_saveexec_b64 s[2:3], s[12:13]
	s_cbranch_execnz .LBB11_130
.LBB11_34:
	s_or_b64 exec, exec, s[2:3]
	s_and_saveexec_b64 s[2:3], s[14:15]
	s_cbranch_execz .LBB11_36
.LBB11_35:
	v_mul_lo_u32 v11, s19, v8
	v_mul_lo_u32 v20, s18, v9
	v_mad_u64_u32 v[18:19], s[16:17], s18, v8, 0
	ds_read_b32 v21, v13 offset:4320
	v_add3_u32 v19, v19, v20, v11
	v_lshlrev_b64 v[18:19], 2, v[18:19]
	v_add_co_u32_e32 v18, vcc, v3, v18
	v_addc_co_u32_e32 v19, vcc, v10, v19, vcc
	s_waitcnt lgkmcnt(0)
	global_store_dword v[18:19], v21, off
.LBB11_36:
	s_or_b64 exec, exec, s[2:3]
	s_mov_b32 s3, 0
	s_or_b32 s2, s8, 2
	v_mov_b32_e32 v11, s3
	v_mov_b32_e32 v10, s2
	v_cmp_le_u64_e32 vcc, s[22:23], v[10:11]
	s_cbranch_vccnz .LBB11_126
; %bb.37:
	s_mul_i32 s3, s21, s2
	s_mul_hi_u32 s9, s20, s2
	s_add_i32 s17, s9, s3
	s_mul_i32 s16, s20, s2
	s_and_saveexec_b64 s[24:25], s[0:1]
	s_cbranch_execz .LBB11_46
; %bb.38:
	s_lshl_b64 s[2:3], s[16:17], 2
	v_ashrrev_i32_e32 v3, 31, v2
	v_mov_b32_e32 v10, s3
	v_cmp_gt_i64_e32 vcc, s[18:19], v[2:3]
	v_add_co_u32_e64 v18, s[2:3], s2, v14
	v_addc_co_u32_e64 v19, s[2:3], v15, v10, s[2:3]
	s_and_saveexec_b64 s[2:3], vcc
	s_cbranch_execz .LBB11_40
; %bb.39:
	v_mul_lo_u32 v20, s11, v2
	v_mul_lo_u32 v3, s10, v3
	v_mad_u64_u32 v[10:11], s[26:27], s10, v2, 0
	v_add3_u32 v11, v11, v3, v20
	v_lshlrev_b64 v[10:11], 2, v[10:11]
	v_add_co_u32_e32 v10, vcc, v18, v10
	v_addc_co_u32_e32 v11, vcc, v19, v11, vcc
	global_load_dword v3, v[10:11], off
	s_waitcnt vmcnt(0)
	ds_write_b32 v12, v3
.LBB11_40:
	s_or_b64 exec, exec, s[2:3]
	v_add_u32_e32 v10, 8, v2
	v_ashrrev_i32_e32 v11, 31, v10
	v_cmp_gt_i64_e32 vcc, s[18:19], v[10:11]
	s_and_saveexec_b64 s[2:3], vcc
	s_cbranch_execz .LBB11_42
; %bb.41:
	v_mul_lo_u32 v3, s11, v10
	v_mul_lo_u32 v20, s10, v11
	v_mad_u64_u32 v[10:11], s[26:27], s10, v10, 0
	v_add3_u32 v11, v11, v20, v3
	v_lshlrev_b64 v[10:11], 2, v[10:11]
	v_add_co_u32_e32 v10, vcc, v18, v10
	v_addc_co_u32_e32 v11, vcc, v19, v11, vcc
	global_load_dword v3, v[10:11], off
	s_waitcnt vmcnt(0)
	ds_write_b32 v12, v3 offset:1056
.LBB11_42:
	s_or_b64 exec, exec, s[2:3]
	v_add_u32_e32 v10, 16, v2
	v_ashrrev_i32_e32 v11, 31, v10
	v_cmp_gt_i64_e32 vcc, s[18:19], v[10:11]
	s_and_saveexec_b64 s[2:3], vcc
	s_cbranch_execz .LBB11_44
; %bb.43:
	v_mul_lo_u32 v3, s11, v10
	v_mul_lo_u32 v20, s10, v11
	v_mad_u64_u32 v[10:11], s[26:27], s10, v10, 0
	v_add3_u32 v11, v11, v20, v3
	v_lshlrev_b64 v[10:11], 2, v[10:11]
	v_add_co_u32_e32 v10, vcc, v18, v10
	v_addc_co_u32_e32 v11, vcc, v19, v11, vcc
	global_load_dword v3, v[10:11], off
	s_waitcnt vmcnt(0)
	ds_write_b32 v12, v3 offset:2112
.LBB11_44:
	s_or_b64 exec, exec, s[2:3]
	v_add_u32_e32 v10, 24, v2
	v_ashrrev_i32_e32 v11, 31, v10
	v_cmp_gt_i64_e32 vcc, s[18:19], v[10:11]
	s_and_b64 exec, exec, vcc
	s_cbranch_execz .LBB11_46
; %bb.45:
	v_mul_lo_u32 v3, s11, v10
	v_mul_lo_u32 v20, s10, v11
	v_mad_u64_u32 v[10:11], s[2:3], s10, v10, 0
	v_add3_u32 v11, v11, v20, v3
	v_lshlrev_b64 v[10:11], 2, v[10:11]
	v_add_co_u32_e32 v10, vcc, v18, v10
	v_addc_co_u32_e32 v11, vcc, v19, v11, vcc
	global_load_dword v3, v[10:11], off
	s_waitcnt vmcnt(0)
	ds_write_b32 v12, v3 offset:3168
.LBB11_46:
	s_or_b64 exec, exec, s[24:25]
	s_lshl_b64 s[2:3], s[16:17], 2
	v_mov_b32_e32 v10, s3
	v_add_co_u32_e32 v3, vcc, s2, v16
	v_addc_co_u32_e32 v10, vcc, v17, v10, vcc
	s_waitcnt vmcnt(0) lgkmcnt(0)
	s_barrier
	s_and_saveexec_b64 s[2:3], s[4:5]
	s_cbranch_execnz .LBB11_131
; %bb.47:
	s_or_b64 exec, exec, s[2:3]
	s_and_saveexec_b64 s[2:3], s[6:7]
	s_cbranch_execnz .LBB11_132
.LBB11_48:
	s_or_b64 exec, exec, s[2:3]
	s_and_saveexec_b64 s[2:3], s[12:13]
	s_cbranch_execnz .LBB11_133
.LBB11_49:
	s_or_b64 exec, exec, s[2:3]
	s_and_saveexec_b64 s[2:3], s[14:15]
	s_cbranch_execz .LBB11_51
.LBB11_50:
	v_mul_lo_u32 v11, s19, v8
	v_mul_lo_u32 v20, s18, v9
	v_mad_u64_u32 v[18:19], s[16:17], s18, v8, 0
	ds_read_b32 v21, v13 offset:96
	v_add3_u32 v19, v19, v20, v11
	v_lshlrev_b64 v[18:19], 2, v[18:19]
	v_add_co_u32_e32 v18, vcc, v3, v18
	v_addc_co_u32_e32 v19, vcc, v10, v19, vcc
	s_waitcnt lgkmcnt(0)
	global_store_dword v[18:19], v21, off
.LBB11_51:
	s_or_b64 exec, exec, s[2:3]
	s_mov_b32 s3, 0
	s_or_b32 s2, s8, 3
	v_mov_b32_e32 v11, s3
	v_mov_b32_e32 v10, s2
	v_cmp_le_u64_e32 vcc, s[22:23], v[10:11]
	s_cbranch_vccnz .LBB11_126
; %bb.52:
	s_mul_i32 s3, s21, s2
	s_mul_hi_u32 s9, s20, s2
	s_add_i32 s17, s9, s3
	s_mul_i32 s16, s20, s2
	s_and_saveexec_b64 s[24:25], s[0:1]
	s_cbranch_execz .LBB11_61
; %bb.53:
	s_lshl_b64 s[2:3], s[16:17], 2
	v_ashrrev_i32_e32 v3, 31, v2
	v_mov_b32_e32 v10, s3
	v_cmp_gt_i64_e32 vcc, s[18:19], v[2:3]
	v_add_co_u32_e64 v18, s[2:3], s2, v14
	v_addc_co_u32_e64 v19, s[2:3], v15, v10, s[2:3]
	s_and_saveexec_b64 s[2:3], vcc
	s_cbranch_execz .LBB11_55
; %bb.54:
	v_mul_lo_u32 v20, s11, v2
	v_mul_lo_u32 v3, s10, v3
	v_mad_u64_u32 v[10:11], s[26:27], s10, v2, 0
	v_add3_u32 v11, v11, v3, v20
	v_lshlrev_b64 v[10:11], 2, v[10:11]
	v_add_co_u32_e32 v10, vcc, v18, v10
	v_addc_co_u32_e32 v11, vcc, v19, v11, vcc
	global_load_dword v3, v[10:11], off
	s_waitcnt vmcnt(0)
	ds_write_b32 v12, v3 offset:4224
.LBB11_55:
	s_or_b64 exec, exec, s[2:3]
	v_add_u32_e32 v10, 8, v2
	v_ashrrev_i32_e32 v11, 31, v10
	v_cmp_gt_i64_e32 vcc, s[18:19], v[10:11]
	s_and_saveexec_b64 s[2:3], vcc
	s_cbranch_execz .LBB11_57
; %bb.56:
	v_mul_lo_u32 v3, s11, v10
	v_mul_lo_u32 v20, s10, v11
	v_mad_u64_u32 v[10:11], s[26:27], s10, v10, 0
	v_add3_u32 v11, v11, v20, v3
	v_lshlrev_b64 v[10:11], 2, v[10:11]
	v_add_co_u32_e32 v10, vcc, v18, v10
	v_addc_co_u32_e32 v11, vcc, v19, v11, vcc
	global_load_dword v3, v[10:11], off
	s_waitcnt vmcnt(0)
	ds_write_b32 v12, v3 offset:5280
.LBB11_57:
	s_or_b64 exec, exec, s[2:3]
	v_add_u32_e32 v10, 16, v2
	v_ashrrev_i32_e32 v11, 31, v10
	v_cmp_gt_i64_e32 vcc, s[18:19], v[10:11]
	;; [unrolled: 18-line block ×3, first 2 shown]
	s_and_b64 exec, exec, vcc
	s_cbranch_execz .LBB11_61
; %bb.60:
	v_mul_lo_u32 v3, s11, v10
	v_mul_lo_u32 v20, s10, v11
	v_mad_u64_u32 v[10:11], s[2:3], s10, v10, 0
	v_add3_u32 v11, v11, v20, v3
	v_lshlrev_b64 v[10:11], 2, v[10:11]
	v_add_co_u32_e32 v10, vcc, v18, v10
	v_addc_co_u32_e32 v11, vcc, v19, v11, vcc
	global_load_dword v3, v[10:11], off
	s_waitcnt vmcnt(0)
	ds_write_b32 v12, v3 offset:7392
.LBB11_61:
	s_or_b64 exec, exec, s[24:25]
	s_lshl_b64 s[2:3], s[16:17], 2
	v_mov_b32_e32 v10, s3
	v_add_co_u32_e32 v3, vcc, s2, v16
	v_addc_co_u32_e32 v10, vcc, v17, v10, vcc
	s_waitcnt vmcnt(0) lgkmcnt(0)
	s_barrier
	s_and_saveexec_b64 s[2:3], s[4:5]
	s_cbranch_execnz .LBB11_134
; %bb.62:
	s_or_b64 exec, exec, s[2:3]
	s_and_saveexec_b64 s[2:3], s[6:7]
	s_cbranch_execnz .LBB11_135
.LBB11_63:
	s_or_b64 exec, exec, s[2:3]
	s_and_saveexec_b64 s[2:3], s[12:13]
	s_cbranch_execnz .LBB11_136
.LBB11_64:
	s_or_b64 exec, exec, s[2:3]
	s_and_saveexec_b64 s[2:3], s[14:15]
	s_cbranch_execz .LBB11_66
.LBB11_65:
	v_mul_lo_u32 v11, s19, v8
	v_mul_lo_u32 v20, s18, v9
	v_mad_u64_u32 v[18:19], s[16:17], s18, v8, 0
	ds_read_b32 v21, v13 offset:4320
	v_add3_u32 v19, v19, v20, v11
	v_lshlrev_b64 v[18:19], 2, v[18:19]
	v_add_co_u32_e32 v18, vcc, v3, v18
	v_addc_co_u32_e32 v19, vcc, v10, v19, vcc
	s_waitcnt lgkmcnt(0)
	global_store_dword v[18:19], v21, off
.LBB11_66:
	s_or_b64 exec, exec, s[2:3]
	s_mov_b32 s3, 0
	s_or_b32 s2, s8, 4
	v_mov_b32_e32 v11, s3
	v_mov_b32_e32 v10, s2
	v_cmp_le_u64_e32 vcc, s[22:23], v[10:11]
	s_cbranch_vccnz .LBB11_126
; %bb.67:
	s_mul_i32 s3, s21, s2
	s_mul_hi_u32 s9, s20, s2
	s_add_i32 s17, s9, s3
	s_mul_i32 s16, s20, s2
	s_and_saveexec_b64 s[24:25], s[0:1]
	s_cbranch_execz .LBB11_76
; %bb.68:
	s_lshl_b64 s[2:3], s[16:17], 2
	v_ashrrev_i32_e32 v3, 31, v2
	v_mov_b32_e32 v10, s3
	v_cmp_gt_i64_e32 vcc, s[18:19], v[2:3]
	v_add_co_u32_e64 v18, s[2:3], s2, v14
	v_addc_co_u32_e64 v19, s[2:3], v15, v10, s[2:3]
	s_and_saveexec_b64 s[2:3], vcc
	s_cbranch_execz .LBB11_70
; %bb.69:
	v_mul_lo_u32 v20, s11, v2
	v_mul_lo_u32 v3, s10, v3
	v_mad_u64_u32 v[10:11], s[26:27], s10, v2, 0
	v_add3_u32 v11, v11, v3, v20
	v_lshlrev_b64 v[10:11], 2, v[10:11]
	v_add_co_u32_e32 v10, vcc, v18, v10
	v_addc_co_u32_e32 v11, vcc, v19, v11, vcc
	global_load_dword v3, v[10:11], off
	s_waitcnt vmcnt(0)
	ds_write_b32 v12, v3
.LBB11_70:
	s_or_b64 exec, exec, s[2:3]
	v_add_u32_e32 v10, 8, v2
	v_ashrrev_i32_e32 v11, 31, v10
	v_cmp_gt_i64_e32 vcc, s[18:19], v[10:11]
	s_and_saveexec_b64 s[2:3], vcc
	s_cbranch_execz .LBB11_72
; %bb.71:
	v_mul_lo_u32 v3, s11, v10
	v_mul_lo_u32 v20, s10, v11
	v_mad_u64_u32 v[10:11], s[26:27], s10, v10, 0
	v_add3_u32 v11, v11, v20, v3
	v_lshlrev_b64 v[10:11], 2, v[10:11]
	v_add_co_u32_e32 v10, vcc, v18, v10
	v_addc_co_u32_e32 v11, vcc, v19, v11, vcc
	global_load_dword v3, v[10:11], off
	s_waitcnt vmcnt(0)
	ds_write_b32 v12, v3 offset:1056
.LBB11_72:
	s_or_b64 exec, exec, s[2:3]
	v_add_u32_e32 v10, 16, v2
	v_ashrrev_i32_e32 v11, 31, v10
	v_cmp_gt_i64_e32 vcc, s[18:19], v[10:11]
	s_and_saveexec_b64 s[2:3], vcc
	s_cbranch_execz .LBB11_74
; %bb.73:
	v_mul_lo_u32 v3, s11, v10
	v_mul_lo_u32 v20, s10, v11
	v_mad_u64_u32 v[10:11], s[26:27], s10, v10, 0
	v_add3_u32 v11, v11, v20, v3
	v_lshlrev_b64 v[10:11], 2, v[10:11]
	v_add_co_u32_e32 v10, vcc, v18, v10
	v_addc_co_u32_e32 v11, vcc, v19, v11, vcc
	global_load_dword v3, v[10:11], off
	s_waitcnt vmcnt(0)
	ds_write_b32 v12, v3 offset:2112
.LBB11_74:
	s_or_b64 exec, exec, s[2:3]
	v_add_u32_e32 v10, 24, v2
	v_ashrrev_i32_e32 v11, 31, v10
	v_cmp_gt_i64_e32 vcc, s[18:19], v[10:11]
	s_and_b64 exec, exec, vcc
	s_cbranch_execz .LBB11_76
; %bb.75:
	v_mul_lo_u32 v3, s11, v10
	v_mul_lo_u32 v20, s10, v11
	v_mad_u64_u32 v[10:11], s[2:3], s10, v10, 0
	v_add3_u32 v11, v11, v20, v3
	v_lshlrev_b64 v[10:11], 2, v[10:11]
	v_add_co_u32_e32 v10, vcc, v18, v10
	v_addc_co_u32_e32 v11, vcc, v19, v11, vcc
	global_load_dword v3, v[10:11], off
	s_waitcnt vmcnt(0)
	ds_write_b32 v12, v3 offset:3168
.LBB11_76:
	s_or_b64 exec, exec, s[24:25]
	s_lshl_b64 s[2:3], s[16:17], 2
	v_mov_b32_e32 v10, s3
	v_add_co_u32_e32 v3, vcc, s2, v16
	v_addc_co_u32_e32 v10, vcc, v17, v10, vcc
	s_waitcnt vmcnt(0) lgkmcnt(0)
	s_barrier
	s_and_saveexec_b64 s[2:3], s[4:5]
	s_cbranch_execnz .LBB11_137
; %bb.77:
	s_or_b64 exec, exec, s[2:3]
	s_and_saveexec_b64 s[2:3], s[6:7]
	s_cbranch_execnz .LBB11_138
.LBB11_78:
	s_or_b64 exec, exec, s[2:3]
	s_and_saveexec_b64 s[2:3], s[12:13]
	s_cbranch_execnz .LBB11_139
.LBB11_79:
	s_or_b64 exec, exec, s[2:3]
	s_and_saveexec_b64 s[2:3], s[14:15]
	s_cbranch_execz .LBB11_81
.LBB11_80:
	v_mul_lo_u32 v11, s19, v8
	v_mul_lo_u32 v20, s18, v9
	v_mad_u64_u32 v[18:19], s[16:17], s18, v8, 0
	ds_read_b32 v21, v13 offset:96
	v_add3_u32 v19, v19, v20, v11
	v_lshlrev_b64 v[18:19], 2, v[18:19]
	v_add_co_u32_e32 v18, vcc, v3, v18
	v_addc_co_u32_e32 v19, vcc, v10, v19, vcc
	s_waitcnt lgkmcnt(0)
	global_store_dword v[18:19], v21, off
.LBB11_81:
	s_or_b64 exec, exec, s[2:3]
	s_mov_b32 s3, 0
	s_or_b32 s2, s8, 5
	v_mov_b32_e32 v11, s3
	v_mov_b32_e32 v10, s2
	v_cmp_le_u64_e32 vcc, s[22:23], v[10:11]
	s_cbranch_vccnz .LBB11_126
; %bb.82:
	s_mul_i32 s3, s21, s2
	s_mul_hi_u32 s9, s20, s2
	s_add_i32 s17, s9, s3
	s_mul_i32 s16, s20, s2
	s_and_saveexec_b64 s[24:25], s[0:1]
	s_cbranch_execz .LBB11_91
; %bb.83:
	s_lshl_b64 s[2:3], s[16:17], 2
	v_ashrrev_i32_e32 v3, 31, v2
	v_mov_b32_e32 v10, s3
	v_cmp_gt_i64_e32 vcc, s[18:19], v[2:3]
	v_add_co_u32_e64 v18, s[2:3], s2, v14
	v_addc_co_u32_e64 v19, s[2:3], v15, v10, s[2:3]
	s_and_saveexec_b64 s[2:3], vcc
	s_cbranch_execz .LBB11_85
; %bb.84:
	v_mul_lo_u32 v20, s11, v2
	v_mul_lo_u32 v3, s10, v3
	v_mad_u64_u32 v[10:11], s[26:27], s10, v2, 0
	v_add3_u32 v11, v11, v3, v20
	v_lshlrev_b64 v[10:11], 2, v[10:11]
	v_add_co_u32_e32 v10, vcc, v18, v10
	v_addc_co_u32_e32 v11, vcc, v19, v11, vcc
	global_load_dword v3, v[10:11], off
	s_waitcnt vmcnt(0)
	ds_write_b32 v12, v3 offset:4224
.LBB11_85:
	s_or_b64 exec, exec, s[2:3]
	v_add_u32_e32 v10, 8, v2
	v_ashrrev_i32_e32 v11, 31, v10
	v_cmp_gt_i64_e32 vcc, s[18:19], v[10:11]
	s_and_saveexec_b64 s[2:3], vcc
	s_cbranch_execz .LBB11_87
; %bb.86:
	v_mul_lo_u32 v3, s11, v10
	v_mul_lo_u32 v20, s10, v11
	v_mad_u64_u32 v[10:11], s[26:27], s10, v10, 0
	v_add3_u32 v11, v11, v20, v3
	v_lshlrev_b64 v[10:11], 2, v[10:11]
	v_add_co_u32_e32 v10, vcc, v18, v10
	v_addc_co_u32_e32 v11, vcc, v19, v11, vcc
	global_load_dword v3, v[10:11], off
	s_waitcnt vmcnt(0)
	ds_write_b32 v12, v3 offset:5280
.LBB11_87:
	s_or_b64 exec, exec, s[2:3]
	v_add_u32_e32 v10, 16, v2
	v_ashrrev_i32_e32 v11, 31, v10
	v_cmp_gt_i64_e32 vcc, s[18:19], v[10:11]
	;; [unrolled: 18-line block ×3, first 2 shown]
	s_and_b64 exec, exec, vcc
	s_cbranch_execz .LBB11_91
; %bb.90:
	v_mul_lo_u32 v3, s11, v10
	v_mul_lo_u32 v20, s10, v11
	v_mad_u64_u32 v[10:11], s[2:3], s10, v10, 0
	v_add3_u32 v11, v11, v20, v3
	v_lshlrev_b64 v[10:11], 2, v[10:11]
	v_add_co_u32_e32 v10, vcc, v18, v10
	v_addc_co_u32_e32 v11, vcc, v19, v11, vcc
	global_load_dword v3, v[10:11], off
	s_waitcnt vmcnt(0)
	ds_write_b32 v12, v3 offset:7392
.LBB11_91:
	s_or_b64 exec, exec, s[24:25]
	s_lshl_b64 s[2:3], s[16:17], 2
	v_mov_b32_e32 v10, s3
	v_add_co_u32_e32 v3, vcc, s2, v16
	v_addc_co_u32_e32 v10, vcc, v17, v10, vcc
	s_waitcnt vmcnt(0) lgkmcnt(0)
	s_barrier
	s_and_saveexec_b64 s[2:3], s[4:5]
	s_cbranch_execnz .LBB11_140
; %bb.92:
	s_or_b64 exec, exec, s[2:3]
	s_and_saveexec_b64 s[2:3], s[6:7]
	s_cbranch_execnz .LBB11_141
.LBB11_93:
	s_or_b64 exec, exec, s[2:3]
	s_and_saveexec_b64 s[2:3], s[12:13]
	s_cbranch_execnz .LBB11_142
.LBB11_94:
	s_or_b64 exec, exec, s[2:3]
	s_and_saveexec_b64 s[2:3], s[14:15]
	s_cbranch_execz .LBB11_96
.LBB11_95:
	v_mul_lo_u32 v11, s19, v8
	v_mul_lo_u32 v20, s18, v9
	v_mad_u64_u32 v[18:19], s[16:17], s18, v8, 0
	ds_read_b32 v21, v13 offset:4320
	v_add3_u32 v19, v19, v20, v11
	v_lshlrev_b64 v[18:19], 2, v[18:19]
	v_add_co_u32_e32 v18, vcc, v3, v18
	v_addc_co_u32_e32 v19, vcc, v10, v19, vcc
	s_waitcnt lgkmcnt(0)
	global_store_dword v[18:19], v21, off
.LBB11_96:
	s_or_b64 exec, exec, s[2:3]
	s_mov_b32 s3, 0
	s_or_b32 s2, s8, 6
	v_mov_b32_e32 v11, s3
	v_mov_b32_e32 v10, s2
	v_cmp_le_u64_e32 vcc, s[22:23], v[10:11]
	s_cbranch_vccnz .LBB11_126
; %bb.97:
	s_mul_i32 s3, s21, s2
	s_mul_hi_u32 s9, s20, s2
	s_add_i32 s17, s9, s3
	s_mul_i32 s16, s20, s2
	s_and_saveexec_b64 s[24:25], s[0:1]
	s_cbranch_execz .LBB11_106
; %bb.98:
	s_lshl_b64 s[2:3], s[16:17], 2
	v_ashrrev_i32_e32 v3, 31, v2
	v_mov_b32_e32 v10, s3
	v_cmp_gt_i64_e32 vcc, s[18:19], v[2:3]
	v_add_co_u32_e64 v18, s[2:3], s2, v14
	v_addc_co_u32_e64 v19, s[2:3], v15, v10, s[2:3]
	s_and_saveexec_b64 s[2:3], vcc
	s_cbranch_execz .LBB11_100
; %bb.99:
	v_mul_lo_u32 v20, s11, v2
	v_mul_lo_u32 v3, s10, v3
	v_mad_u64_u32 v[10:11], s[26:27], s10, v2, 0
	v_add3_u32 v11, v11, v3, v20
	v_lshlrev_b64 v[10:11], 2, v[10:11]
	v_add_co_u32_e32 v10, vcc, v18, v10
	v_addc_co_u32_e32 v11, vcc, v19, v11, vcc
	global_load_dword v3, v[10:11], off
	s_waitcnt vmcnt(0)
	ds_write_b32 v12, v3
.LBB11_100:
	s_or_b64 exec, exec, s[2:3]
	v_add_u32_e32 v10, 8, v2
	v_ashrrev_i32_e32 v11, 31, v10
	v_cmp_gt_i64_e32 vcc, s[18:19], v[10:11]
	s_and_saveexec_b64 s[2:3], vcc
	s_cbranch_execz .LBB11_102
; %bb.101:
	v_mul_lo_u32 v3, s11, v10
	v_mul_lo_u32 v20, s10, v11
	v_mad_u64_u32 v[10:11], s[26:27], s10, v10, 0
	v_add3_u32 v11, v11, v20, v3
	v_lshlrev_b64 v[10:11], 2, v[10:11]
	v_add_co_u32_e32 v10, vcc, v18, v10
	v_addc_co_u32_e32 v11, vcc, v19, v11, vcc
	global_load_dword v3, v[10:11], off
	s_waitcnt vmcnt(0)
	ds_write_b32 v12, v3 offset:1056
.LBB11_102:
	s_or_b64 exec, exec, s[2:3]
	v_add_u32_e32 v10, 16, v2
	v_ashrrev_i32_e32 v11, 31, v10
	v_cmp_gt_i64_e32 vcc, s[18:19], v[10:11]
	s_and_saveexec_b64 s[2:3], vcc
	s_cbranch_execz .LBB11_104
; %bb.103:
	v_mul_lo_u32 v3, s11, v10
	v_mul_lo_u32 v20, s10, v11
	v_mad_u64_u32 v[10:11], s[26:27], s10, v10, 0
	v_add3_u32 v11, v11, v20, v3
	v_lshlrev_b64 v[10:11], 2, v[10:11]
	v_add_co_u32_e32 v10, vcc, v18, v10
	v_addc_co_u32_e32 v11, vcc, v19, v11, vcc
	global_load_dword v3, v[10:11], off
	s_waitcnt vmcnt(0)
	ds_write_b32 v12, v3 offset:2112
.LBB11_104:
	s_or_b64 exec, exec, s[2:3]
	v_add_u32_e32 v10, 24, v2
	v_ashrrev_i32_e32 v11, 31, v10
	v_cmp_gt_i64_e32 vcc, s[18:19], v[10:11]
	s_and_b64 exec, exec, vcc
	s_cbranch_execz .LBB11_106
; %bb.105:
	v_mul_lo_u32 v3, s11, v10
	v_mul_lo_u32 v20, s10, v11
	v_mad_u64_u32 v[10:11], s[2:3], s10, v10, 0
	v_add3_u32 v11, v11, v20, v3
	v_lshlrev_b64 v[10:11], 2, v[10:11]
	v_add_co_u32_e32 v10, vcc, v18, v10
	v_addc_co_u32_e32 v11, vcc, v19, v11, vcc
	global_load_dword v3, v[10:11], off
	s_waitcnt vmcnt(0)
	ds_write_b32 v12, v3 offset:3168
.LBB11_106:
	s_or_b64 exec, exec, s[24:25]
	s_lshl_b64 s[2:3], s[16:17], 2
	v_mov_b32_e32 v10, s3
	v_add_co_u32_e32 v3, vcc, s2, v16
	v_addc_co_u32_e32 v10, vcc, v17, v10, vcc
	s_waitcnt vmcnt(0) lgkmcnt(0)
	s_barrier
	s_and_saveexec_b64 s[2:3], s[4:5]
	s_cbranch_execnz .LBB11_143
; %bb.107:
	s_or_b64 exec, exec, s[2:3]
	s_and_saveexec_b64 s[2:3], s[6:7]
	s_cbranch_execnz .LBB11_144
.LBB11_108:
	s_or_b64 exec, exec, s[2:3]
	s_and_saveexec_b64 s[2:3], s[12:13]
	s_cbranch_execnz .LBB11_145
.LBB11_109:
	s_or_b64 exec, exec, s[2:3]
	s_and_saveexec_b64 s[2:3], s[14:15]
	s_cbranch_execz .LBB11_111
.LBB11_110:
	v_mul_lo_u32 v11, s19, v8
	v_mul_lo_u32 v20, s18, v9
	v_mad_u64_u32 v[18:19], s[16:17], s18, v8, 0
	ds_read_b32 v21, v13 offset:96
	v_add3_u32 v19, v19, v20, v11
	v_lshlrev_b64 v[18:19], 2, v[18:19]
	v_add_co_u32_e32 v18, vcc, v3, v18
	v_addc_co_u32_e32 v19, vcc, v10, v19, vcc
	s_waitcnt lgkmcnt(0)
	global_store_dword v[18:19], v21, off
.LBB11_111:
	s_or_b64 exec, exec, s[2:3]
	s_mov_b32 s3, 0
	s_or_b32 s2, s8, 7
	v_mov_b32_e32 v11, s3
	v_mov_b32_e32 v10, s2
	v_cmp_le_u64_e32 vcc, s[22:23], v[10:11]
	s_cbranch_vccnz .LBB11_126
; %bb.112:
	s_mul_i32 s3, s21, s2
	s_mul_hi_u32 s8, s20, s2
	s_add_i32 s3, s8, s3
	s_mul_i32 s2, s20, s2
	s_and_saveexec_b64 s[8:9], s[0:1]
	s_cbranch_execz .LBB11_121
; %bb.113:
	s_lshl_b64 s[0:1], s[2:3], 2
	v_ashrrev_i32_e32 v3, 31, v2
	v_mov_b32_e32 v10, s1
	v_cmp_gt_i64_e32 vcc, s[18:19], v[2:3]
	v_add_co_u32_e64 v14, s[0:1], s0, v14
	v_addc_co_u32_e64 v15, s[0:1], v15, v10, s[0:1]
	s_and_saveexec_b64 s[0:1], vcc
	s_cbranch_execz .LBB11_115
; %bb.114:
	v_mul_lo_u32 v18, s11, v2
	v_mul_lo_u32 v3, s10, v3
	v_mad_u64_u32 v[10:11], s[16:17], s10, v2, 0
	v_add3_u32 v11, v11, v3, v18
	v_lshlrev_b64 v[10:11], 2, v[10:11]
	v_add_co_u32_e32 v10, vcc, v14, v10
	v_addc_co_u32_e32 v11, vcc, v15, v11, vcc
	global_load_dword v3, v[10:11], off
	s_waitcnt vmcnt(0)
	ds_write_b32 v12, v3 offset:4224
.LBB11_115:
	s_or_b64 exec, exec, s[0:1]
	v_add_u32_e32 v10, 8, v2
	v_ashrrev_i32_e32 v11, 31, v10
	v_cmp_gt_i64_e32 vcc, s[18:19], v[10:11]
	s_and_saveexec_b64 s[0:1], vcc
	s_cbranch_execz .LBB11_117
; %bb.116:
	v_mul_lo_u32 v3, s11, v10
	v_mul_lo_u32 v18, s10, v11
	v_mad_u64_u32 v[10:11], s[16:17], s10, v10, 0
	v_add3_u32 v11, v11, v18, v3
	v_lshlrev_b64 v[10:11], 2, v[10:11]
	v_add_co_u32_e32 v10, vcc, v14, v10
	v_addc_co_u32_e32 v11, vcc, v15, v11, vcc
	global_load_dword v3, v[10:11], off
	s_waitcnt vmcnt(0)
	ds_write_b32 v12, v3 offset:5280
.LBB11_117:
	s_or_b64 exec, exec, s[0:1]
	v_add_u32_e32 v10, 16, v2
	v_ashrrev_i32_e32 v11, 31, v10
	v_cmp_gt_i64_e32 vcc, s[18:19], v[10:11]
	;; [unrolled: 18-line block ×3, first 2 shown]
	s_and_b64 exec, exec, vcc
	s_cbranch_execz .LBB11_121
; %bb.120:
	v_mul_lo_u32 v10, s11, v2
	v_mul_lo_u32 v11, s10, v3
	v_mad_u64_u32 v[2:3], s[0:1], s10, v2, 0
	v_add3_u32 v3, v3, v11, v10
	v_lshlrev_b64 v[2:3], 2, v[2:3]
	v_add_co_u32_e32 v2, vcc, v14, v2
	v_addc_co_u32_e32 v3, vcc, v15, v3, vcc
	global_load_dword v2, v[2:3], off
	s_waitcnt vmcnt(0)
	ds_write_b32 v12, v2 offset:7392
.LBB11_121:
	s_or_b64 exec, exec, s[8:9]
	s_lshl_b64 s[0:1], s[2:3], 2
	v_mov_b32_e32 v3, s1
	v_add_co_u32_e32 v2, vcc, s0, v16
	v_addc_co_u32_e32 v3, vcc, v17, v3, vcc
	s_waitcnt vmcnt(0) lgkmcnt(0)
	s_barrier
	s_and_saveexec_b64 s[0:1], s[4:5]
	s_cbranch_execnz .LBB11_146
; %bb.122:
	s_or_b64 exec, exec, s[0:1]
	s_and_saveexec_b64 s[0:1], s[6:7]
	s_cbranch_execnz .LBB11_147
.LBB11_123:
	s_or_b64 exec, exec, s[0:1]
	s_and_saveexec_b64 s[0:1], s[12:13]
	s_cbranch_execnz .LBB11_148
.LBB11_124:
	s_or_b64 exec, exec, s[0:1]
	s_and_saveexec_b64 s[0:1], s[14:15]
	s_cbranch_execz .LBB11_126
.LBB11_125:
	v_mul_lo_u32 v4, s19, v8
	v_mul_lo_u32 v5, s18, v9
	v_mad_u64_u32 v[0:1], s[0:1], s18, v8, 0
	ds_read_b32 v6, v13 offset:4320
	v_add3_u32 v1, v1, v5, v4
	v_lshlrev_b64 v[0:1], 2, v[0:1]
	v_add_co_u32_e32 v0, vcc, v2, v0
	v_addc_co_u32_e32 v1, vcc, v3, v1, vcc
	s_waitcnt lgkmcnt(0)
	global_store_dword v[0:1], v6, off
.LBB11_126:
	s_endpgm
.LBB11_127:
                                        ; implicit-def: $sgpr22_sgpr23
	s_branch .LBB11_2
.LBB11_128:
	v_mul_lo_u32 v11, s19, v4
	v_mul_lo_u32 v20, s18, v5
	v_mad_u64_u32 v[18:19], s[16:17], s18, v4, 0
	ds_read_b32 v21, v13 offset:4224
	v_add3_u32 v19, v19, v20, v11
	v_lshlrev_b64 v[18:19], 2, v[18:19]
	v_add_co_u32_e32 v18, vcc, v3, v18
	v_addc_co_u32_e32 v19, vcc, v10, v19, vcc
	s_waitcnt lgkmcnt(0)
	global_store_dword v[18:19], v21, off
	s_or_b64 exec, exec, s[2:3]
	s_and_saveexec_b64 s[2:3], s[6:7]
	s_cbranch_execz .LBB11_33
.LBB11_129:
	v_mul_lo_u32 v11, s19, v0
	v_mul_lo_u32 v20, s18, v1
	v_mad_u64_u32 v[18:19], s[16:17], s18, v0, 0
	ds_read_b32 v21, v13 offset:4256
	v_add3_u32 v19, v19, v20, v11
	v_lshlrev_b64 v[18:19], 2, v[18:19]
	v_add_co_u32_e32 v18, vcc, v3, v18
	v_addc_co_u32_e32 v19, vcc, v10, v19, vcc
	s_waitcnt lgkmcnt(0)
	global_store_dword v[18:19], v21, off
	s_or_b64 exec, exec, s[2:3]
	s_and_saveexec_b64 s[2:3], s[12:13]
	s_cbranch_execz .LBB11_34
.LBB11_130:
	v_mul_lo_u32 v11, s19, v6
	v_mul_lo_u32 v20, s18, v7
	v_mad_u64_u32 v[18:19], s[16:17], s18, v6, 0
	ds_read_b32 v21, v13 offset:4288
	v_add3_u32 v19, v19, v20, v11
	v_lshlrev_b64 v[18:19], 2, v[18:19]
	v_add_co_u32_e32 v18, vcc, v3, v18
	v_addc_co_u32_e32 v19, vcc, v10, v19, vcc
	s_waitcnt lgkmcnt(0)
	global_store_dword v[18:19], v21, off
	s_or_b64 exec, exec, s[2:3]
	s_and_saveexec_b64 s[2:3], s[14:15]
	s_cbranch_execnz .LBB11_35
	s_branch .LBB11_36
.LBB11_131:
	v_mul_lo_u32 v11, s19, v4
	v_mul_lo_u32 v20, s18, v5
	v_mad_u64_u32 v[18:19], s[16:17], s18, v4, 0
	ds_read_b32 v21, v13
	v_add3_u32 v19, v19, v20, v11
	v_lshlrev_b64 v[18:19], 2, v[18:19]
	v_add_co_u32_e32 v18, vcc, v3, v18
	v_addc_co_u32_e32 v19, vcc, v10, v19, vcc
	s_waitcnt lgkmcnt(0)
	global_store_dword v[18:19], v21, off
	s_or_b64 exec, exec, s[2:3]
	s_and_saveexec_b64 s[2:3], s[6:7]
	s_cbranch_execz .LBB11_48
.LBB11_132:
	v_mul_lo_u32 v11, s19, v0
	v_mul_lo_u32 v20, s18, v1
	v_mad_u64_u32 v[18:19], s[16:17], s18, v0, 0
	ds_read_b32 v21, v13 offset:32
	v_add3_u32 v19, v19, v20, v11
	v_lshlrev_b64 v[18:19], 2, v[18:19]
	v_add_co_u32_e32 v18, vcc, v3, v18
	v_addc_co_u32_e32 v19, vcc, v10, v19, vcc
	s_waitcnt lgkmcnt(0)
	global_store_dword v[18:19], v21, off
	s_or_b64 exec, exec, s[2:3]
	s_and_saveexec_b64 s[2:3], s[12:13]
	s_cbranch_execz .LBB11_49
.LBB11_133:
	v_mul_lo_u32 v11, s19, v6
	v_mul_lo_u32 v20, s18, v7
	v_mad_u64_u32 v[18:19], s[16:17], s18, v6, 0
	ds_read_b32 v21, v13 offset:64
	v_add3_u32 v19, v19, v20, v11
	v_lshlrev_b64 v[18:19], 2, v[18:19]
	v_add_co_u32_e32 v18, vcc, v3, v18
	v_addc_co_u32_e32 v19, vcc, v10, v19, vcc
	s_waitcnt lgkmcnt(0)
	global_store_dword v[18:19], v21, off
	s_or_b64 exec, exec, s[2:3]
	s_and_saveexec_b64 s[2:3], s[14:15]
	s_cbranch_execnz .LBB11_50
	s_branch .LBB11_51
.LBB11_134:
	v_mul_lo_u32 v11, s19, v4
	v_mul_lo_u32 v20, s18, v5
	v_mad_u64_u32 v[18:19], s[16:17], s18, v4, 0
	ds_read_b32 v21, v13 offset:4224
	v_add3_u32 v19, v19, v20, v11
	v_lshlrev_b64 v[18:19], 2, v[18:19]
	v_add_co_u32_e32 v18, vcc, v3, v18
	v_addc_co_u32_e32 v19, vcc, v10, v19, vcc
	s_waitcnt lgkmcnt(0)
	global_store_dword v[18:19], v21, off
	s_or_b64 exec, exec, s[2:3]
	s_and_saveexec_b64 s[2:3], s[6:7]
	s_cbranch_execz .LBB11_63
.LBB11_135:
	v_mul_lo_u32 v11, s19, v0
	v_mul_lo_u32 v20, s18, v1
	v_mad_u64_u32 v[18:19], s[16:17], s18, v0, 0
	ds_read_b32 v21, v13 offset:4256
	v_add3_u32 v19, v19, v20, v11
	v_lshlrev_b64 v[18:19], 2, v[18:19]
	v_add_co_u32_e32 v18, vcc, v3, v18
	v_addc_co_u32_e32 v19, vcc, v10, v19, vcc
	s_waitcnt lgkmcnt(0)
	global_store_dword v[18:19], v21, off
	s_or_b64 exec, exec, s[2:3]
	s_and_saveexec_b64 s[2:3], s[12:13]
	s_cbranch_execz .LBB11_64
.LBB11_136:
	v_mul_lo_u32 v11, s19, v6
	v_mul_lo_u32 v20, s18, v7
	v_mad_u64_u32 v[18:19], s[16:17], s18, v6, 0
	ds_read_b32 v21, v13 offset:4288
	v_add3_u32 v19, v19, v20, v11
	v_lshlrev_b64 v[18:19], 2, v[18:19]
	v_add_co_u32_e32 v18, vcc, v3, v18
	v_addc_co_u32_e32 v19, vcc, v10, v19, vcc
	s_waitcnt lgkmcnt(0)
	global_store_dword v[18:19], v21, off
	s_or_b64 exec, exec, s[2:3]
	s_and_saveexec_b64 s[2:3], s[14:15]
	s_cbranch_execnz .LBB11_65
	s_branch .LBB11_66
.LBB11_137:
	v_mul_lo_u32 v11, s19, v4
	v_mul_lo_u32 v20, s18, v5
	v_mad_u64_u32 v[18:19], s[16:17], s18, v4, 0
	ds_read_b32 v21, v13
	v_add3_u32 v19, v19, v20, v11
	v_lshlrev_b64 v[18:19], 2, v[18:19]
	v_add_co_u32_e32 v18, vcc, v3, v18
	v_addc_co_u32_e32 v19, vcc, v10, v19, vcc
	s_waitcnt lgkmcnt(0)
	global_store_dword v[18:19], v21, off
	s_or_b64 exec, exec, s[2:3]
	s_and_saveexec_b64 s[2:3], s[6:7]
	s_cbranch_execz .LBB11_78
.LBB11_138:
	v_mul_lo_u32 v11, s19, v0
	v_mul_lo_u32 v20, s18, v1
	v_mad_u64_u32 v[18:19], s[16:17], s18, v0, 0
	ds_read_b32 v21, v13 offset:32
	v_add3_u32 v19, v19, v20, v11
	v_lshlrev_b64 v[18:19], 2, v[18:19]
	v_add_co_u32_e32 v18, vcc, v3, v18
	v_addc_co_u32_e32 v19, vcc, v10, v19, vcc
	s_waitcnt lgkmcnt(0)
	global_store_dword v[18:19], v21, off
	s_or_b64 exec, exec, s[2:3]
	s_and_saveexec_b64 s[2:3], s[12:13]
	s_cbranch_execz .LBB11_79
.LBB11_139:
	v_mul_lo_u32 v11, s19, v6
	v_mul_lo_u32 v20, s18, v7
	v_mad_u64_u32 v[18:19], s[16:17], s18, v6, 0
	ds_read_b32 v21, v13 offset:64
	v_add3_u32 v19, v19, v20, v11
	v_lshlrev_b64 v[18:19], 2, v[18:19]
	v_add_co_u32_e32 v18, vcc, v3, v18
	v_addc_co_u32_e32 v19, vcc, v10, v19, vcc
	s_waitcnt lgkmcnt(0)
	global_store_dword v[18:19], v21, off
	s_or_b64 exec, exec, s[2:3]
	s_and_saveexec_b64 s[2:3], s[14:15]
	s_cbranch_execnz .LBB11_80
	s_branch .LBB11_81
.LBB11_140:
	v_mul_lo_u32 v11, s19, v4
	v_mul_lo_u32 v20, s18, v5
	v_mad_u64_u32 v[18:19], s[16:17], s18, v4, 0
	ds_read_b32 v21, v13 offset:4224
	v_add3_u32 v19, v19, v20, v11
	v_lshlrev_b64 v[18:19], 2, v[18:19]
	v_add_co_u32_e32 v18, vcc, v3, v18
	v_addc_co_u32_e32 v19, vcc, v10, v19, vcc
	s_waitcnt lgkmcnt(0)
	global_store_dword v[18:19], v21, off
	s_or_b64 exec, exec, s[2:3]
	s_and_saveexec_b64 s[2:3], s[6:7]
	s_cbranch_execz .LBB11_93
.LBB11_141:
	v_mul_lo_u32 v11, s19, v0
	v_mul_lo_u32 v20, s18, v1
	v_mad_u64_u32 v[18:19], s[16:17], s18, v0, 0
	ds_read_b32 v21, v13 offset:4256
	v_add3_u32 v19, v19, v20, v11
	v_lshlrev_b64 v[18:19], 2, v[18:19]
	v_add_co_u32_e32 v18, vcc, v3, v18
	v_addc_co_u32_e32 v19, vcc, v10, v19, vcc
	s_waitcnt lgkmcnt(0)
	global_store_dword v[18:19], v21, off
	s_or_b64 exec, exec, s[2:3]
	s_and_saveexec_b64 s[2:3], s[12:13]
	s_cbranch_execz .LBB11_94
.LBB11_142:
	v_mul_lo_u32 v11, s19, v6
	v_mul_lo_u32 v20, s18, v7
	v_mad_u64_u32 v[18:19], s[16:17], s18, v6, 0
	ds_read_b32 v21, v13 offset:4288
	v_add3_u32 v19, v19, v20, v11
	v_lshlrev_b64 v[18:19], 2, v[18:19]
	v_add_co_u32_e32 v18, vcc, v3, v18
	v_addc_co_u32_e32 v19, vcc, v10, v19, vcc
	s_waitcnt lgkmcnt(0)
	global_store_dword v[18:19], v21, off
	s_or_b64 exec, exec, s[2:3]
	s_and_saveexec_b64 s[2:3], s[14:15]
	s_cbranch_execnz .LBB11_95
	s_branch .LBB11_96
.LBB11_143:
	v_mul_lo_u32 v11, s19, v4
	v_mul_lo_u32 v20, s18, v5
	v_mad_u64_u32 v[18:19], s[16:17], s18, v4, 0
	ds_read_b32 v21, v13
	v_add3_u32 v19, v19, v20, v11
	v_lshlrev_b64 v[18:19], 2, v[18:19]
	v_add_co_u32_e32 v18, vcc, v3, v18
	v_addc_co_u32_e32 v19, vcc, v10, v19, vcc
	s_waitcnt lgkmcnt(0)
	global_store_dword v[18:19], v21, off
	s_or_b64 exec, exec, s[2:3]
	s_and_saveexec_b64 s[2:3], s[6:7]
	s_cbranch_execz .LBB11_108
.LBB11_144:
	v_mul_lo_u32 v11, s19, v0
	v_mul_lo_u32 v20, s18, v1
	v_mad_u64_u32 v[18:19], s[16:17], s18, v0, 0
	ds_read_b32 v21, v13 offset:32
	v_add3_u32 v19, v19, v20, v11
	v_lshlrev_b64 v[18:19], 2, v[18:19]
	v_add_co_u32_e32 v18, vcc, v3, v18
	v_addc_co_u32_e32 v19, vcc, v10, v19, vcc
	s_waitcnt lgkmcnt(0)
	global_store_dword v[18:19], v21, off
	s_or_b64 exec, exec, s[2:3]
	s_and_saveexec_b64 s[2:3], s[12:13]
	s_cbranch_execz .LBB11_109
.LBB11_145:
	v_mul_lo_u32 v11, s19, v6
	v_mul_lo_u32 v20, s18, v7
	v_mad_u64_u32 v[18:19], s[16:17], s18, v6, 0
	ds_read_b32 v21, v13 offset:64
	v_add3_u32 v19, v19, v20, v11
	v_lshlrev_b64 v[18:19], 2, v[18:19]
	v_add_co_u32_e32 v18, vcc, v3, v18
	v_addc_co_u32_e32 v19, vcc, v10, v19, vcc
	s_waitcnt lgkmcnt(0)
	global_store_dword v[18:19], v21, off
	s_or_b64 exec, exec, s[2:3]
	s_and_saveexec_b64 s[2:3], s[14:15]
	s_cbranch_execnz .LBB11_110
	s_branch .LBB11_111
.LBB11_146:
	v_mul_lo_u32 v10, s19, v4
	v_mul_lo_u32 v11, s18, v5
	v_mad_u64_u32 v[4:5], s[2:3], s18, v4, 0
	ds_read_b32 v12, v13 offset:4224
	v_add3_u32 v5, v5, v11, v10
	v_lshlrev_b64 v[4:5], 2, v[4:5]
	v_add_co_u32_e32 v4, vcc, v2, v4
	v_addc_co_u32_e32 v5, vcc, v3, v5, vcc
	s_waitcnt lgkmcnt(0)
	global_store_dword v[4:5], v12, off
	s_or_b64 exec, exec, s[0:1]
	s_and_saveexec_b64 s[0:1], s[6:7]
	s_cbranch_execz .LBB11_123
.LBB11_147:
	v_mul_lo_u32 v4, s19, v0
	v_mul_lo_u32 v5, s18, v1
	v_mad_u64_u32 v[0:1], s[2:3], s18, v0, 0
	ds_read_b32 v10, v13 offset:4256
	v_add3_u32 v1, v1, v5, v4
	v_lshlrev_b64 v[0:1], 2, v[0:1]
	v_add_co_u32_e32 v0, vcc, v2, v0
	v_addc_co_u32_e32 v1, vcc, v3, v1, vcc
	s_waitcnt lgkmcnt(0)
	global_store_dword v[0:1], v10, off
	s_or_b64 exec, exec, s[0:1]
	s_and_saveexec_b64 s[0:1], s[12:13]
	s_cbranch_execz .LBB11_124
.LBB11_148:
	v_mul_lo_u32 v4, s19, v6
	v_mul_lo_u32 v5, s18, v7
	v_mad_u64_u32 v[0:1], s[2:3], s18, v6, 0
	ds_read_b32 v6, v13 offset:4288
	v_add3_u32 v1, v1, v5, v4
	v_lshlrev_b64 v[0:1], 2, v[0:1]
	v_add_co_u32_e32 v0, vcc, v2, v0
	v_addc_co_u32_e32 v1, vcc, v3, v1, vcc
	s_waitcnt lgkmcnt(0)
	global_store_dword v[0:1], v6, off
	s_or_b64 exec, exec, s[0:1]
	s_and_saveexec_b64 s[0:1], s[14:15]
	s_cbranch_execnz .LBB11_125
	s_branch .LBB11_126
	.section	.rodata,"a",@progbits
	.p2align	6, 0x0
	.amdhsa_kernel _ZL20cpy_scalar_transposeIfEvPKcPclllllllllllllll
		.amdhsa_group_segment_fixed_size 8448
		.amdhsa_private_segment_fixed_size 0
		.amdhsa_kernarg_size 136
		.amdhsa_user_sgpr_count 6
		.amdhsa_user_sgpr_private_segment_buffer 1
		.amdhsa_user_sgpr_dispatch_ptr 0
		.amdhsa_user_sgpr_queue_ptr 0
		.amdhsa_user_sgpr_kernarg_segment_ptr 1
		.amdhsa_user_sgpr_dispatch_id 0
		.amdhsa_user_sgpr_flat_scratch_init 0
		.amdhsa_user_sgpr_private_segment_size 0
		.amdhsa_uses_dynamic_stack 0
		.amdhsa_system_sgpr_private_segment_wavefront_offset 0
		.amdhsa_system_sgpr_workgroup_id_x 1
		.amdhsa_system_sgpr_workgroup_id_y 1
		.amdhsa_system_sgpr_workgroup_id_z 1
		.amdhsa_system_sgpr_workgroup_info 0
		.amdhsa_system_vgpr_workitem_id 1
		.amdhsa_next_free_vgpr 29
		.amdhsa_next_free_sgpr 61
		.amdhsa_reserve_vcc 1
		.amdhsa_reserve_flat_scratch 0
		.amdhsa_float_round_mode_32 0
		.amdhsa_float_round_mode_16_64 0
		.amdhsa_float_denorm_mode_32 3
		.amdhsa_float_denorm_mode_16_64 3
		.amdhsa_dx10_clamp 1
		.amdhsa_ieee_mode 1
		.amdhsa_fp16_overflow 0
		.amdhsa_exception_fp_ieee_invalid_op 0
		.amdhsa_exception_fp_denorm_src 0
		.amdhsa_exception_fp_ieee_div_zero 0
		.amdhsa_exception_fp_ieee_overflow 0
		.amdhsa_exception_fp_ieee_underflow 0
		.amdhsa_exception_fp_ieee_inexact 0
		.amdhsa_exception_int_div_zero 0
	.end_amdhsa_kernel
	.section	.text._ZL20cpy_scalar_transposeIfEvPKcPclllllllllllllll,"axG",@progbits,_ZL20cpy_scalar_transposeIfEvPKcPclllllllllllllll,comdat
.Lfunc_end11:
	.size	_ZL20cpy_scalar_transposeIfEvPKcPclllllllllllllll, .Lfunc_end11-_ZL20cpy_scalar_transposeIfEvPKcPclllllllllllllll
                                        ; -- End function
	.set _ZL20cpy_scalar_transposeIfEvPKcPclllllllllllllll.num_vgpr, 22
	.set _ZL20cpy_scalar_transposeIfEvPKcPclllllllllllllll.num_agpr, 0
	.set _ZL20cpy_scalar_transposeIfEvPKcPclllllllllllllll.numbered_sgpr, 35
	.set _ZL20cpy_scalar_transposeIfEvPKcPclllllllllllllll.num_named_barrier, 0
	.set _ZL20cpy_scalar_transposeIfEvPKcPclllllllllllllll.private_seg_size, 0
	.set _ZL20cpy_scalar_transposeIfEvPKcPclllllllllllllll.uses_vcc, 1
	.set _ZL20cpy_scalar_transposeIfEvPKcPclllllllllllllll.uses_flat_scratch, 0
	.set _ZL20cpy_scalar_transposeIfEvPKcPclllllllllllllll.has_dyn_sized_stack, 0
	.set _ZL20cpy_scalar_transposeIfEvPKcPclllllllllllllll.has_recursion, 0
	.set _ZL20cpy_scalar_transposeIfEvPKcPclllllllllllllll.has_indirect_call, 0
	.section	.AMDGPU.csdata,"",@progbits
; Kernel info:
; codeLenInByte = 7436
; TotalNumSgprs: 39
; NumVgprs: 22
; ScratchSize: 0
; MemoryBound: 0
; FloatMode: 240
; IeeeMode: 1
; LDSByteSize: 8448 bytes/workgroup (compile time only)
; SGPRBlocks: 8
; VGPRBlocks: 7
; NumSGPRsForWavesPerEU: 65
; NumVGPRsForWavesPerEU: 29
; Occupancy: 8
; WaveLimiterHint : 0
; COMPUTE_PGM_RSRC2:SCRATCH_EN: 0
; COMPUTE_PGM_RSRC2:USER_SGPR: 6
; COMPUTE_PGM_RSRC2:TRAP_HANDLER: 0
; COMPUTE_PGM_RSRC2:TGID_X_EN: 1
; COMPUTE_PGM_RSRC2:TGID_Y_EN: 1
; COMPUTE_PGM_RSRC2:TGID_Z_EN: 1
; COMPUTE_PGM_RSRC2:TIDIG_COMP_CNT: 1
	.section	.text._ZL10cpy_scalarIXadL_ZL12cpy_1_scalarIffEvPKcPcEEEvS2_S3_lllllllllllllll,"axG",@progbits,_ZL10cpy_scalarIXadL_ZL12cpy_1_scalarIffEvPKcPcEEEvS2_S3_lllllllllllllll,comdat
	.globl	_ZL10cpy_scalarIXadL_ZL12cpy_1_scalarIffEvPKcPcEEEvS2_S3_lllllllllllllll ; -- Begin function _ZL10cpy_scalarIXadL_ZL12cpy_1_scalarIffEvPKcPcEEEvS2_S3_lllllllllllllll
	.p2align	8
	.type	_ZL10cpy_scalarIXadL_ZL12cpy_1_scalarIffEvPKcPcEEEvS2_S3_lllllllllllllll,@function
_ZL10cpy_scalarIXadL_ZL12cpy_1_scalarIffEvPKcPcEEEvS2_S3_lllllllllllllll: ; @_ZL10cpy_scalarIXadL_ZL12cpy_1_scalarIffEvPKcPcEEEvS2_S3_lllllllllllllll
; %bb.0:
	s_load_dword s0, s[4:5], 0x94
	v_mov_b32_e32 v2, 0
	s_load_dwordx16 s[8:23], s[4:5], 0x0
	v_mov_b32_e32 v1, v2
	v_mov_b32_e32 v3, s6
	s_waitcnt lgkmcnt(0)
	s_and_b32 s0, s0, 0xffff
	v_mad_u64_u32 v[4:5], s[0:1], s0, v3, v[0:1]
	v_cmp_gt_i64_e32 vcc, s[12:13], v[4:5]
	s_and_saveexec_b64 s[0:1], vcc
	s_cbranch_execz .LBB12_26
; %bb.1:
	s_mul_i32 s0, s16, s15
	s_mul_hi_u32 s1, s16, s14
	s_add_i32 s0, s1, s0
	s_mul_i32 s1, s17, s14
	s_mul_i32 s16, s16, s14
	s_add_i32 s17, s0, s1
	s_mul_i32 s0, s16, s19
	s_mul_hi_u32 s1, s16, s18
	s_add_i32 s0, s1, s0
	s_mul_i32 s1, s17, s18
	s_add_i32 s19, s0, s1
	v_or_b32_e32 v3, s19, v5
	v_cmp_ne_u64_e32 vcc, 0, v[2:3]
	s_mul_i32 s18, s16, s18
	v_ashrrev_i32_e32 v10, 31, v5
                                        ; implicit-def: $vgpr0_vgpr1
	s_and_saveexec_b64 s[0:1], vcc
	s_xor_b64 s[2:3], exec, s[0:1]
	s_cbranch_execz .LBB12_3
; %bb.2:
	s_ashr_i32 s6, s19, 31
	s_add_u32 s0, s18, s6
	s_mov_b32 s7, s6
	s_addc_u32 s1, s19, s6
	s_xor_b64 s[12:13], s[0:1], s[6:7]
	v_cvt_f32_u32_e32 v0, s12
	v_cvt_f32_u32_e32 v1, s13
	s_sub_u32 s7, 0, s12
	s_subb_u32 s24, 0, s13
	v_madmk_f32 v0, v1, 0x4f800000, v0
	v_rcp_f32_e32 v0, v0
	v_mul_f32_e32 v0, 0x5f7ffffc, v0
	v_mul_f32_e32 v1, 0x2f800000, v0
	v_trunc_f32_e32 v1, v1
	v_madmk_f32 v0, v1, 0xcf800000, v0
	v_cvt_u32_f32_e32 v1, v1
	v_cvt_u32_f32_e32 v0, v0
	v_readfirstlane_b32 s25, v1
	v_readfirstlane_b32 s0, v0
	s_mul_i32 s1, s7, s25
	s_mul_hi_u32 s27, s7, s0
	s_mul_i32 s26, s24, s0
	s_add_i32 s1, s27, s1
	s_add_i32 s1, s1, s26
	s_mul_i32 s28, s7, s0
	s_mul_i32 s27, s0, s1
	s_mul_hi_u32 s29, s0, s28
	s_mul_hi_u32 s26, s0, s1
	s_add_u32 s27, s29, s27
	s_addc_u32 s26, 0, s26
	s_mul_hi_u32 s30, s25, s28
	s_mul_i32 s28, s25, s28
	s_add_u32 s27, s27, s28
	s_mul_hi_u32 s29, s25, s1
	s_addc_u32 s26, s26, s30
	s_addc_u32 s27, s29, 0
	s_mul_i32 s1, s25, s1
	s_add_u32 s1, s26, s1
	s_addc_u32 s26, 0, s27
	s_add_u32 s27, s0, s1
	s_cselect_b64 s[0:1], -1, 0
	s_cmp_lg_u64 s[0:1], 0
	s_addc_u32 s25, s25, s26
	s_mul_i32 s0, s7, s25
	s_mul_hi_u32 s1, s7, s27
	s_add_i32 s0, s1, s0
	s_mul_i32 s24, s24, s27
	s_add_i32 s0, s0, s24
	s_mul_i32 s7, s7, s27
	s_mul_hi_u32 s24, s25, s7
	s_mul_i32 s26, s25, s7
	s_mul_i32 s29, s27, s0
	s_mul_hi_u32 s7, s27, s7
	s_mul_hi_u32 s28, s27, s0
	s_add_u32 s7, s7, s29
	s_addc_u32 s28, 0, s28
	s_add_u32 s7, s7, s26
	s_mul_hi_u32 s1, s25, s0
	s_addc_u32 s7, s28, s24
	s_addc_u32 s1, s1, 0
	s_mul_i32 s0, s25, s0
	s_add_u32 s0, s7, s0
	s_addc_u32 s7, 0, s1
	s_add_u32 s24, s27, s0
	s_cselect_b64 s[0:1], -1, 0
	s_cmp_lg_u64 s[0:1], 0
	v_add_co_u32_e32 v0, vcc, v4, v10
	s_addc_u32 s7, s25, s7
	v_xor_b32_e32 v6, v0, v10
	v_mad_u64_u32 v[0:1], s[0:1], v6, s7, 0
	v_mul_hi_u32 v3, v6, s24
	v_addc_co_u32_e32 v2, vcc, v5, v10, vcc
	v_xor_b32_e32 v7, v2, v10
	v_add_co_u32_e32 v8, vcc, v3, v0
	v_addc_co_u32_e32 v9, vcc, 0, v1, vcc
	v_mad_u64_u32 v[0:1], s[0:1], v7, s24, 0
	v_mad_u64_u32 v[2:3], s[0:1], v7, s7, 0
	v_add_co_u32_e32 v0, vcc, v8, v0
	v_addc_co_u32_e32 v0, vcc, v9, v1, vcc
	v_addc_co_u32_e32 v1, vcc, 0, v3, vcc
	v_add_co_u32_e32 v2, vcc, v0, v2
	v_addc_co_u32_e32 v3, vcc, 0, v1, vcc
	v_mul_lo_u32 v8, s13, v2
	v_mul_lo_u32 v9, s12, v3
	v_mad_u64_u32 v[0:1], s[0:1], s12, v2, 0
	v_add3_u32 v1, v1, v9, v8
	v_sub_u32_e32 v8, v7, v1
	v_mov_b32_e32 v9, s13
	v_sub_co_u32_e32 v0, vcc, v6, v0
	v_subb_co_u32_e64 v6, s[0:1], v8, v9, vcc
	v_subrev_co_u32_e64 v8, s[0:1], s12, v0
	v_subbrev_co_u32_e64 v6, s[0:1], 0, v6, s[0:1]
	v_cmp_le_u32_e64 s[0:1], s13, v6
	v_cndmask_b32_e64 v9, 0, -1, s[0:1]
	v_cmp_le_u32_e64 s[0:1], s12, v8
	v_cndmask_b32_e64 v8, 0, -1, s[0:1]
	v_cmp_eq_u32_e64 s[0:1], s13, v6
	v_cndmask_b32_e64 v6, v9, v8, s[0:1]
	v_add_co_u32_e64 v8, s[0:1], 2, v2
	v_subb_co_u32_e32 v1, vcc, v7, v1, vcc
	v_addc_co_u32_e64 v9, s[0:1], 0, v3, s[0:1]
	v_cmp_le_u32_e32 vcc, s13, v1
	v_add_co_u32_e64 v11, s[0:1], 1, v2
	v_cndmask_b32_e64 v7, 0, -1, vcc
	v_cmp_le_u32_e32 vcc, s12, v0
	v_addc_co_u32_e64 v12, s[0:1], 0, v3, s[0:1]
	v_cndmask_b32_e64 v0, 0, -1, vcc
	v_cmp_eq_u32_e32 vcc, s13, v1
	v_cmp_ne_u32_e64 s[0:1], 0, v6
	v_cndmask_b32_e32 v0, v7, v0, vcc
	v_cndmask_b32_e64 v6, v12, v9, s[0:1]
	v_cmp_ne_u32_e32 vcc, 0, v0
	v_cndmask_b32_e64 v1, v11, v8, s[0:1]
	v_cndmask_b32_e32 v0, v3, v6, vcc
	v_cndmask_b32_e32 v1, v2, v1, vcc
	v_xor_b32_e32 v2, s6, v10
	v_xor_b32_e32 v3, v0, v2
	;; [unrolled: 1-line block ×3, first 2 shown]
	v_sub_co_u32_e32 v0, vcc, v0, v2
	v_subb_co_u32_e32 v1, vcc, v3, v2, vcc
.LBB12_3:
	s_andn2_saveexec_b64 s[0:1], s[2:3]
	s_cbranch_execz .LBB12_5
; %bb.4:
	v_cvt_f32_u32_e32 v0, s18
	s_sub_i32 s2, 0, s18
	v_rcp_iflag_f32_e32 v0, v0
	v_mul_f32_e32 v0, 0x4f7ffffe, v0
	v_cvt_u32_f32_e32 v0, v0
	v_mul_lo_u32 v1, s2, v0
	v_mul_hi_u32 v1, v0, v1
	v_add_u32_e32 v0, v0, v1
	v_mul_hi_u32 v0, v4, v0
	v_mul_lo_u32 v1, v0, s18
	v_add_u32_e32 v2, 1, v0
	v_sub_u32_e32 v1, v4, v1
	v_subrev_u32_e32 v3, s18, v1
	v_cmp_le_u32_e32 vcc, s18, v1
	v_cndmask_b32_e32 v1, v1, v3, vcc
	v_cndmask_b32_e32 v0, v0, v2, vcc
	v_add_u32_e32 v2, 1, v0
	v_cmp_le_u32_e32 vcc, s18, v1
	v_cndmask_b32_e32 v0, v0, v2, vcc
	v_mov_b32_e32 v1, 0
.LBB12_5:
	s_or_b64 exec, exec, s[0:1]
	v_mul_lo_u32 v6, s19, v0
	v_mul_lo_u32 v7, s18, v1
	v_mad_u64_u32 v[2:3], s[0:1], s18, v0, 0
	v_add3_u32 v3, v3, v7, v6
	v_sub_co_u32_e32 v6, vcc, v4, v2
	v_subb_co_u32_e32 v7, vcc, v5, v3, vcc
	v_or_b32_e32 v3, s17, v7
	v_mov_b32_e32 v2, 0
	v_cmp_ne_u64_e32 vcc, 0, v[2:3]
                                        ; implicit-def: $vgpr2_vgpr3
	s_and_saveexec_b64 s[0:1], vcc
	s_xor_b64 s[2:3], exec, s[0:1]
	s_cbranch_execz .LBB12_7
; %bb.6:
	s_ashr_i32 s6, s17, 31
	s_add_u32 s0, s16, s6
	s_mov_b32 s7, s6
	s_addc_u32 s1, s17, s6
	s_xor_b64 s[12:13], s[0:1], s[6:7]
	v_cvt_f32_u32_e32 v2, s12
	v_cvt_f32_u32_e32 v3, s13
	s_sub_u32 s7, 0, s12
	s_subb_u32 s18, 0, s13
	v_ashrrev_i32_e32 v11, 31, v7
	v_madmk_f32 v2, v3, 0x4f800000, v2
	v_rcp_f32_e32 v2, v2
	v_mul_f32_e32 v2, 0x5f7ffffc, v2
	v_mul_f32_e32 v3, 0x2f800000, v2
	v_trunc_f32_e32 v3, v3
	v_madmk_f32 v2, v3, 0xcf800000, v2
	v_cvt_u32_f32_e32 v3, v3
	v_cvt_u32_f32_e32 v2, v2
	v_readfirstlane_b32 s19, v3
	v_readfirstlane_b32 s0, v2
	s_mul_i32 s1, s7, s19
	s_mul_hi_u32 s25, s7, s0
	s_mul_i32 s24, s18, s0
	s_add_i32 s1, s25, s1
	s_add_i32 s1, s1, s24
	s_mul_i32 s26, s7, s0
	s_mul_i32 s25, s0, s1
	s_mul_hi_u32 s27, s0, s26
	s_mul_hi_u32 s24, s0, s1
	s_add_u32 s25, s27, s25
	s_addc_u32 s24, 0, s24
	s_mul_hi_u32 s28, s19, s26
	s_mul_i32 s26, s19, s26
	s_add_u32 s25, s25, s26
	s_mul_hi_u32 s27, s19, s1
	s_addc_u32 s24, s24, s28
	s_addc_u32 s25, s27, 0
	s_mul_i32 s1, s19, s1
	s_add_u32 s1, s24, s1
	s_addc_u32 s24, 0, s25
	s_add_u32 s25, s0, s1
	s_cselect_b64 s[0:1], -1, 0
	s_cmp_lg_u64 s[0:1], 0
	s_addc_u32 s19, s19, s24
	s_mul_i32 s0, s7, s19
	s_mul_hi_u32 s1, s7, s25
	s_add_i32 s0, s1, s0
	s_mul_i32 s18, s18, s25
	s_add_i32 s0, s0, s18
	s_mul_i32 s7, s7, s25
	s_mul_hi_u32 s18, s19, s7
	s_mul_i32 s24, s19, s7
	s_mul_i32 s27, s25, s0
	s_mul_hi_u32 s7, s25, s7
	s_mul_hi_u32 s26, s25, s0
	s_add_u32 s7, s7, s27
	s_addc_u32 s26, 0, s26
	s_add_u32 s7, s7, s24
	s_mul_hi_u32 s1, s19, s0
	s_addc_u32 s7, s26, s18
	s_addc_u32 s1, s1, 0
	s_mul_i32 s0, s19, s0
	s_add_u32 s0, s7, s0
	s_addc_u32 s7, 0, s1
	s_add_u32 s18, s25, s0
	s_cselect_b64 s[0:1], -1, 0
	s_cmp_lg_u64 s[0:1], 0
	v_add_co_u32_e32 v2, vcc, v6, v11
	s_addc_u32 s7, s19, s7
	v_xor_b32_e32 v12, v2, v11
	v_mad_u64_u32 v[2:3], s[0:1], v12, s7, 0
	v_mul_hi_u32 v9, v12, s18
	v_addc_co_u32_e32 v8, vcc, v7, v11, vcc
	v_xor_b32_e32 v13, v8, v11
	v_add_co_u32_e32 v14, vcc, v9, v2
	v_addc_co_u32_e32 v15, vcc, 0, v3, vcc
	v_mad_u64_u32 v[2:3], s[0:1], v13, s18, 0
	v_mad_u64_u32 v[8:9], s[0:1], v13, s7, 0
	v_add_co_u32_e32 v2, vcc, v14, v2
	v_addc_co_u32_e32 v2, vcc, v15, v3, vcc
	v_addc_co_u32_e32 v3, vcc, 0, v9, vcc
	v_add_co_u32_e32 v8, vcc, v2, v8
	v_addc_co_u32_e32 v9, vcc, 0, v3, vcc
	v_mul_lo_u32 v14, s13, v8
	v_mul_lo_u32 v15, s12, v9
	v_mad_u64_u32 v[2:3], s[0:1], s12, v8, 0
	v_add3_u32 v3, v3, v15, v14
	v_sub_u32_e32 v14, v13, v3
	v_mov_b32_e32 v15, s13
	v_sub_co_u32_e32 v2, vcc, v12, v2
	v_subb_co_u32_e64 v12, s[0:1], v14, v15, vcc
	v_subrev_co_u32_e64 v14, s[0:1], s12, v2
	v_subbrev_co_u32_e64 v12, s[0:1], 0, v12, s[0:1]
	v_cmp_le_u32_e64 s[0:1], s13, v12
	v_cndmask_b32_e64 v15, 0, -1, s[0:1]
	v_cmp_le_u32_e64 s[0:1], s12, v14
	v_cndmask_b32_e64 v14, 0, -1, s[0:1]
	v_cmp_eq_u32_e64 s[0:1], s13, v12
	v_cndmask_b32_e64 v12, v15, v14, s[0:1]
	v_add_co_u32_e64 v14, s[0:1], 2, v8
	v_subb_co_u32_e32 v3, vcc, v13, v3, vcc
	v_addc_co_u32_e64 v15, s[0:1], 0, v9, s[0:1]
	v_cmp_le_u32_e32 vcc, s13, v3
	v_add_co_u32_e64 v16, s[0:1], 1, v8
	v_cndmask_b32_e64 v13, 0, -1, vcc
	v_cmp_le_u32_e32 vcc, s12, v2
	v_addc_co_u32_e64 v17, s[0:1], 0, v9, s[0:1]
	v_cndmask_b32_e64 v2, 0, -1, vcc
	v_cmp_eq_u32_e32 vcc, s13, v3
	v_cmp_ne_u32_e64 s[0:1], 0, v12
	v_cndmask_b32_e32 v2, v13, v2, vcc
	v_cndmask_b32_e64 v12, v17, v15, s[0:1]
	v_cmp_ne_u32_e32 vcc, 0, v2
	v_cndmask_b32_e64 v3, v16, v14, s[0:1]
	v_cndmask_b32_e32 v2, v9, v12, vcc
	v_cndmask_b32_e32 v3, v8, v3, vcc
	v_xor_b32_e32 v8, s6, v11
	v_xor_b32_e32 v9, v2, v8
	;; [unrolled: 1-line block ×3, first 2 shown]
	v_sub_co_u32_e32 v2, vcc, v2, v8
	v_subb_co_u32_e32 v3, vcc, v9, v8, vcc
.LBB12_7:
	s_andn2_saveexec_b64 s[0:1], s[2:3]
	s_cbranch_execz .LBB12_9
; %bb.8:
	v_cvt_f32_u32_e32 v2, s16
	s_sub_i32 s2, 0, s16
	v_rcp_iflag_f32_e32 v2, v2
	v_mul_f32_e32 v2, 0x4f7ffffe, v2
	v_cvt_u32_f32_e32 v2, v2
	v_mul_lo_u32 v3, s2, v2
	v_mul_hi_u32 v3, v2, v3
	v_add_u32_e32 v2, v2, v3
	v_mul_hi_u32 v2, v6, v2
	v_mul_lo_u32 v3, v2, s16
	v_add_u32_e32 v8, 1, v2
	v_sub_u32_e32 v3, v6, v3
	v_subrev_u32_e32 v9, s16, v3
	v_cmp_le_u32_e32 vcc, s16, v3
	v_cndmask_b32_e32 v3, v3, v9, vcc
	v_cndmask_b32_e32 v2, v2, v8, vcc
	v_add_u32_e32 v8, 1, v2
	v_cmp_le_u32_e32 vcc, s16, v3
	v_cndmask_b32_e32 v2, v2, v8, vcc
	v_mov_b32_e32 v3, 0
.LBB12_9:
	s_or_b64 exec, exec, s[0:1]
	v_mul_lo_u32 v11, s17, v2
	v_mul_lo_u32 v12, s16, v3
	v_mad_u64_u32 v[8:9], s[0:1], s16, v2, 0
	v_add3_u32 v9, v9, v12, v11
	v_sub_co_u32_e32 v12, vcc, v6, v8
	v_subb_co_u32_e32 v13, vcc, v7, v9, vcc
	v_or_b32_e32 v7, s15, v13
	v_mov_b32_e32 v6, 0
	v_cmp_ne_u64_e32 vcc, 0, v[6:7]
                                        ; implicit-def: $vgpr6_vgpr7
	s_and_saveexec_b64 s[0:1], vcc
	s_xor_b64 s[2:3], exec, s[0:1]
	s_cbranch_execz .LBB12_11
; %bb.10:
	s_ashr_i32 s6, s15, 31
	s_add_u32 s0, s14, s6
	s_mov_b32 s7, s6
	s_addc_u32 s1, s15, s6
	s_xor_b64 s[12:13], s[0:1], s[6:7]
	v_cvt_f32_u32_e32 v6, s12
	v_cvt_f32_u32_e32 v7, s13
	s_sub_u32 s7, 0, s12
	s_subb_u32 s16, 0, s13
	v_ashrrev_i32_e32 v11, 31, v13
	v_madmk_f32 v6, v7, 0x4f800000, v6
	v_rcp_f32_e32 v6, v6
	v_mul_f32_e32 v6, 0x5f7ffffc, v6
	v_mul_f32_e32 v7, 0x2f800000, v6
	v_trunc_f32_e32 v7, v7
	v_madmk_f32 v6, v7, 0xcf800000, v6
	v_cvt_u32_f32_e32 v7, v7
	v_cvt_u32_f32_e32 v6, v6
	v_readfirstlane_b32 s17, v7
	v_readfirstlane_b32 s0, v6
	s_mul_i32 s1, s7, s17
	s_mul_hi_u32 s19, s7, s0
	s_mul_i32 s18, s16, s0
	s_add_i32 s1, s19, s1
	s_add_i32 s1, s1, s18
	s_mul_i32 s24, s7, s0
	s_mul_i32 s19, s0, s1
	s_mul_hi_u32 s25, s0, s24
	s_mul_hi_u32 s18, s0, s1
	s_add_u32 s19, s25, s19
	s_addc_u32 s18, 0, s18
	s_mul_hi_u32 s26, s17, s24
	s_mul_i32 s24, s17, s24
	s_add_u32 s19, s19, s24
	s_mul_hi_u32 s25, s17, s1
	s_addc_u32 s18, s18, s26
	s_addc_u32 s19, s25, 0
	s_mul_i32 s1, s17, s1
	s_add_u32 s1, s18, s1
	s_addc_u32 s18, 0, s19
	s_add_u32 s19, s0, s1
	s_cselect_b64 s[0:1], -1, 0
	s_cmp_lg_u64 s[0:1], 0
	s_addc_u32 s17, s17, s18
	s_mul_i32 s0, s7, s17
	s_mul_hi_u32 s1, s7, s19
	s_add_i32 s0, s1, s0
	s_mul_i32 s16, s16, s19
	s_add_i32 s0, s0, s16
	s_mul_i32 s7, s7, s19
	s_mul_hi_u32 s16, s17, s7
	s_mul_i32 s18, s17, s7
	s_mul_i32 s25, s19, s0
	s_mul_hi_u32 s7, s19, s7
	s_mul_hi_u32 s24, s19, s0
	s_add_u32 s7, s7, s25
	s_addc_u32 s24, 0, s24
	s_add_u32 s7, s7, s18
	s_mul_hi_u32 s1, s17, s0
	s_addc_u32 s7, s24, s16
	s_addc_u32 s1, s1, 0
	s_mul_i32 s0, s17, s0
	s_add_u32 s0, s7, s0
	s_addc_u32 s7, 0, s1
	s_add_u32 s16, s19, s0
	s_cselect_b64 s[0:1], -1, 0
	s_cmp_lg_u64 s[0:1], 0
	v_add_co_u32_e32 v6, vcc, v12, v11
	s_addc_u32 s7, s17, s7
	v_xor_b32_e32 v14, v6, v11
	v_mad_u64_u32 v[6:7], s[0:1], v14, s7, 0
	v_mul_hi_u32 v9, v14, s16
	v_addc_co_u32_e32 v8, vcc, v13, v11, vcc
	v_xor_b32_e32 v15, v8, v11
	v_add_co_u32_e32 v16, vcc, v9, v6
	v_addc_co_u32_e32 v17, vcc, 0, v7, vcc
	v_mad_u64_u32 v[6:7], s[0:1], v15, s16, 0
	v_mad_u64_u32 v[8:9], s[0:1], v15, s7, 0
	v_add_co_u32_e32 v6, vcc, v16, v6
	v_addc_co_u32_e32 v6, vcc, v17, v7, vcc
	v_addc_co_u32_e32 v7, vcc, 0, v9, vcc
	v_add_co_u32_e32 v8, vcc, v6, v8
	v_addc_co_u32_e32 v9, vcc, 0, v7, vcc
	v_mul_lo_u32 v16, s13, v8
	v_mul_lo_u32 v17, s12, v9
	v_mad_u64_u32 v[6:7], s[0:1], s12, v8, 0
	v_add3_u32 v7, v7, v17, v16
	v_sub_u32_e32 v16, v15, v7
	v_mov_b32_e32 v17, s13
	v_sub_co_u32_e32 v6, vcc, v14, v6
	v_subb_co_u32_e64 v14, s[0:1], v16, v17, vcc
	v_subrev_co_u32_e64 v16, s[0:1], s12, v6
	v_subbrev_co_u32_e64 v14, s[0:1], 0, v14, s[0:1]
	v_cmp_le_u32_e64 s[0:1], s13, v14
	v_cndmask_b32_e64 v17, 0, -1, s[0:1]
	v_cmp_le_u32_e64 s[0:1], s12, v16
	v_cndmask_b32_e64 v16, 0, -1, s[0:1]
	v_cmp_eq_u32_e64 s[0:1], s13, v14
	v_cndmask_b32_e64 v14, v17, v16, s[0:1]
	v_add_co_u32_e64 v16, s[0:1], 2, v8
	v_subb_co_u32_e32 v7, vcc, v15, v7, vcc
	v_addc_co_u32_e64 v17, s[0:1], 0, v9, s[0:1]
	v_cmp_le_u32_e32 vcc, s13, v7
	v_add_co_u32_e64 v18, s[0:1], 1, v8
	v_cndmask_b32_e64 v15, 0, -1, vcc
	v_cmp_le_u32_e32 vcc, s12, v6
	v_addc_co_u32_e64 v19, s[0:1], 0, v9, s[0:1]
	v_cndmask_b32_e64 v6, 0, -1, vcc
	v_cmp_eq_u32_e32 vcc, s13, v7
	v_cmp_ne_u32_e64 s[0:1], 0, v14
	v_cndmask_b32_e32 v6, v15, v6, vcc
	v_cndmask_b32_e64 v14, v19, v17, s[0:1]
	v_cmp_ne_u32_e32 vcc, 0, v6
	v_cndmask_b32_e64 v7, v18, v16, s[0:1]
	v_cndmask_b32_e32 v6, v9, v14, vcc
	v_cndmask_b32_e32 v7, v8, v7, vcc
	v_xor_b32_e32 v8, s6, v11
	v_xor_b32_e32 v9, v6, v8
	;; [unrolled: 1-line block ×3, first 2 shown]
	v_sub_co_u32_e32 v6, vcc, v6, v8
	v_subb_co_u32_e32 v7, vcc, v9, v8, vcc
.LBB12_11:
	s_andn2_saveexec_b64 s[0:1], s[2:3]
	s_cbranch_execz .LBB12_13
; %bb.12:
	v_cvt_f32_u32_e32 v6, s14
	s_sub_i32 s2, 0, s14
	v_rcp_iflag_f32_e32 v6, v6
	v_mul_f32_e32 v6, 0x4f7ffffe, v6
	v_cvt_u32_f32_e32 v6, v6
	v_mul_lo_u32 v7, s2, v6
	v_mul_hi_u32 v7, v6, v7
	v_add_u32_e32 v6, v6, v7
	v_mul_hi_u32 v6, v12, v6
	v_mul_lo_u32 v7, v6, s14
	v_add_u32_e32 v8, 1, v6
	v_sub_u32_e32 v7, v12, v7
	v_subrev_u32_e32 v9, s14, v7
	v_cmp_le_u32_e32 vcc, s14, v7
	v_cndmask_b32_e32 v7, v7, v9, vcc
	v_cndmask_b32_e32 v6, v6, v8, vcc
	v_add_u32_e32 v8, 1, v6
	v_cmp_le_u32_e32 vcc, s14, v7
	v_cndmask_b32_e32 v6, v6, v8, vcc
	v_mov_b32_e32 v7, 0
.LBB12_13:
	s_or_b64 exec, exec, s[0:1]
	s_load_dwordx16 s[36:51], s[4:5], 0x40
	v_mov_b32_e32 v8, 0
	s_waitcnt lgkmcnt(0)
	s_mul_i32 s0, s42, s41
	s_mul_hi_u32 s1, s42, s40
	s_mul_i32 s2, s43, s40
	s_mul_i32 s16, s42, s40
	s_add_i32 s17, s1, s0
	s_mul_i32 s0, s16, s45
	s_add_i32 s17, s17, s2
	s_mul_hi_u32 s1, s16, s44
	s_add_i32 s0, s1, s0
	s_mul_i32 s1, s17, s44
	s_add_i32 s18, s0, s1
	v_or_b32_e32 v9, s18, v5
	v_cmp_ne_u64_e32 vcc, 0, v[8:9]
	s_mul_i32 s19, s16, s44
                                        ; implicit-def: $vgpr8_vgpr9
	s_and_saveexec_b64 s[0:1], vcc
	s_xor_b64 s[2:3], exec, s[0:1]
	s_cbranch_execz .LBB12_15
; %bb.14:
	s_ashr_i32 s6, s18, 31
	s_add_u32 s0, s19, s6
	s_mov_b32 s7, s6
	s_addc_u32 s1, s18, s6
	s_xor_b64 s[12:13], s[0:1], s[6:7]
	v_cvt_f32_u32_e32 v8, s12
	v_cvt_f32_u32_e32 v9, s13
	s_sub_u32 s7, 0, s12
	s_subb_u32 s24, 0, s13
	v_madmk_f32 v8, v9, 0x4f800000, v8
	v_rcp_f32_e32 v8, v8
	v_mul_f32_e32 v8, 0x5f7ffffc, v8
	v_mul_f32_e32 v9, 0x2f800000, v8
	v_trunc_f32_e32 v9, v9
	v_madmk_f32 v8, v9, 0xcf800000, v8
	v_cvt_u32_f32_e32 v9, v9
	v_cvt_u32_f32_e32 v8, v8
	v_readfirstlane_b32 s25, v9
	v_readfirstlane_b32 s0, v8
	s_mul_i32 s1, s7, s25
	s_mul_hi_u32 s27, s7, s0
	s_mul_i32 s26, s24, s0
	s_add_i32 s1, s27, s1
	s_add_i32 s1, s1, s26
	s_mul_i32 s28, s7, s0
	s_mul_i32 s27, s0, s1
	s_mul_hi_u32 s29, s0, s28
	s_mul_hi_u32 s26, s0, s1
	s_add_u32 s27, s29, s27
	s_addc_u32 s26, 0, s26
	s_mul_hi_u32 s30, s25, s28
	s_mul_i32 s28, s25, s28
	s_add_u32 s27, s27, s28
	s_mul_hi_u32 s29, s25, s1
	s_addc_u32 s26, s26, s30
	s_addc_u32 s27, s29, 0
	s_mul_i32 s1, s25, s1
	s_add_u32 s1, s26, s1
	s_addc_u32 s26, 0, s27
	s_add_u32 s27, s0, s1
	s_cselect_b64 s[0:1], -1, 0
	s_cmp_lg_u64 s[0:1], 0
	s_addc_u32 s25, s25, s26
	s_mul_i32 s0, s7, s25
	s_mul_hi_u32 s1, s7, s27
	s_add_i32 s0, s1, s0
	s_mul_i32 s24, s24, s27
	s_add_i32 s0, s0, s24
	s_mul_i32 s7, s7, s27
	s_mul_hi_u32 s24, s25, s7
	s_mul_i32 s26, s25, s7
	s_mul_i32 s29, s27, s0
	s_mul_hi_u32 s7, s27, s7
	s_mul_hi_u32 s28, s27, s0
	s_add_u32 s7, s7, s29
	s_addc_u32 s28, 0, s28
	s_add_u32 s7, s7, s26
	s_mul_hi_u32 s1, s25, s0
	s_addc_u32 s7, s28, s24
	s_addc_u32 s1, s1, 0
	s_mul_i32 s0, s25, s0
	s_add_u32 s0, s7, s0
	s_addc_u32 s7, 0, s1
	s_add_u32 s24, s27, s0
	s_cselect_b64 s[0:1], -1, 0
	s_cmp_lg_u64 s[0:1], 0
	v_add_co_u32_e32 v8, vcc, v4, v10
	s_addc_u32 s7, s25, s7
	v_xor_b32_e32 v16, v8, v10
	v_mad_u64_u32 v[8:9], s[0:1], v16, s7, 0
	v_mul_hi_u32 v14, v16, s24
	v_addc_co_u32_e32 v11, vcc, v5, v10, vcc
	v_xor_b32_e32 v11, v11, v10
	v_add_co_u32_e32 v17, vcc, v14, v8
	v_addc_co_u32_e32 v18, vcc, 0, v9, vcc
	v_mad_u64_u32 v[8:9], s[0:1], v11, s24, 0
	v_mad_u64_u32 v[14:15], s[0:1], v11, s7, 0
	v_add_co_u32_e32 v8, vcc, v17, v8
	v_addc_co_u32_e32 v8, vcc, v18, v9, vcc
	v_addc_co_u32_e32 v9, vcc, 0, v15, vcc
	v_add_co_u32_e32 v14, vcc, v8, v14
	v_addc_co_u32_e32 v15, vcc, 0, v9, vcc
	v_mul_lo_u32 v17, s13, v14
	v_mul_lo_u32 v18, s12, v15
	v_mad_u64_u32 v[8:9], s[0:1], s12, v14, 0
	v_xor_b32_e32 v10, s6, v10
	v_add3_u32 v9, v9, v18, v17
	v_sub_u32_e32 v17, v11, v9
	v_mov_b32_e32 v18, s13
	v_sub_co_u32_e32 v8, vcc, v16, v8
	v_subb_co_u32_e64 v16, s[0:1], v17, v18, vcc
	v_subrev_co_u32_e64 v17, s[0:1], s12, v8
	v_subbrev_co_u32_e64 v16, s[0:1], 0, v16, s[0:1]
	v_cmp_le_u32_e64 s[0:1], s13, v16
	v_cndmask_b32_e64 v18, 0, -1, s[0:1]
	v_cmp_le_u32_e64 s[0:1], s12, v17
	v_cndmask_b32_e64 v17, 0, -1, s[0:1]
	v_cmp_eq_u32_e64 s[0:1], s13, v16
	v_cndmask_b32_e64 v16, v18, v17, s[0:1]
	v_add_co_u32_e64 v17, s[0:1], 2, v14
	v_subb_co_u32_e32 v9, vcc, v11, v9, vcc
	v_addc_co_u32_e64 v18, s[0:1], 0, v15, s[0:1]
	v_cmp_le_u32_e32 vcc, s13, v9
	v_add_co_u32_e64 v19, s[0:1], 1, v14
	v_cndmask_b32_e64 v11, 0, -1, vcc
	v_cmp_le_u32_e32 vcc, s12, v8
	v_addc_co_u32_e64 v20, s[0:1], 0, v15, s[0:1]
	v_cndmask_b32_e64 v8, 0, -1, vcc
	v_cmp_eq_u32_e32 vcc, s13, v9
	v_cmp_ne_u32_e64 s[0:1], 0, v16
	v_cndmask_b32_e32 v8, v11, v8, vcc
	v_cndmask_b32_e64 v16, v20, v18, s[0:1]
	v_cmp_ne_u32_e32 vcc, 0, v8
	v_cndmask_b32_e64 v9, v19, v17, s[0:1]
	v_cndmask_b32_e32 v8, v15, v16, vcc
	v_cndmask_b32_e32 v9, v14, v9, vcc
	v_xor_b32_e32 v11, v8, v10
	v_xor_b32_e32 v8, v9, v10
	v_sub_co_u32_e32 v8, vcc, v8, v10
	v_subb_co_u32_e32 v9, vcc, v11, v10, vcc
.LBB12_15:
	s_andn2_saveexec_b64 s[0:1], s[2:3]
	s_cbranch_execz .LBB12_17
; %bb.16:
	v_cvt_f32_u32_e32 v8, s19
	s_sub_i32 s2, 0, s19
	v_rcp_iflag_f32_e32 v8, v8
	v_mul_f32_e32 v8, 0x4f7ffffe, v8
	v_cvt_u32_f32_e32 v8, v8
	v_mul_lo_u32 v9, s2, v8
	v_mul_hi_u32 v9, v8, v9
	v_add_u32_e32 v8, v8, v9
	v_mul_hi_u32 v8, v4, v8
	v_mul_lo_u32 v9, v8, s19
	v_add_u32_e32 v10, 1, v8
	v_sub_u32_e32 v9, v4, v9
	v_subrev_u32_e32 v11, s19, v9
	v_cmp_le_u32_e32 vcc, s19, v9
	v_cndmask_b32_e32 v9, v9, v11, vcc
	v_cndmask_b32_e32 v8, v8, v10, vcc
	v_add_u32_e32 v10, 1, v8
	v_cmp_le_u32_e32 vcc, s19, v9
	v_cndmask_b32_e32 v8, v8, v10, vcc
	v_mov_b32_e32 v9, 0
.LBB12_17:
	s_or_b64 exec, exec, s[0:1]
	v_mul_lo_u32 v14, s18, v8
	v_mul_lo_u32 v15, s19, v9
	v_mad_u64_u32 v[10:11], s[0:1], s19, v8, 0
	v_add3_u32 v11, v11, v15, v14
	v_sub_co_u32_e32 v10, vcc, v4, v10
	v_subb_co_u32_e32 v11, vcc, v5, v11, vcc
	v_or_b32_e32 v5, s17, v11
	v_mov_b32_e32 v4, 0
	v_cmp_ne_u64_e32 vcc, 0, v[4:5]
                                        ; implicit-def: $vgpr4_vgpr5
	s_and_saveexec_b64 s[0:1], vcc
	s_xor_b64 s[2:3], exec, s[0:1]
	s_cbranch_execz .LBB12_19
; %bb.18:
	s_ashr_i32 s6, s17, 31
	s_add_u32 s0, s16, s6
	s_mov_b32 s7, s6
	s_addc_u32 s1, s17, s6
	s_xor_b64 s[12:13], s[0:1], s[6:7]
	v_cvt_f32_u32_e32 v4, s12
	v_cvt_f32_u32_e32 v5, s13
	s_sub_u32 s7, 0, s12
	s_subb_u32 s18, 0, s13
	v_ashrrev_i32_e32 v16, 31, v11
	v_madmk_f32 v4, v5, 0x4f800000, v4
	v_rcp_f32_e32 v4, v4
	v_mul_f32_e32 v4, 0x5f7ffffc, v4
	v_mul_f32_e32 v5, 0x2f800000, v4
	v_trunc_f32_e32 v5, v5
	v_madmk_f32 v4, v5, 0xcf800000, v4
	v_cvt_u32_f32_e32 v5, v5
	v_cvt_u32_f32_e32 v4, v4
	v_readfirstlane_b32 s19, v5
	v_readfirstlane_b32 s0, v4
	s_mul_i32 s1, s7, s19
	s_mul_hi_u32 s25, s7, s0
	s_mul_i32 s24, s18, s0
	s_add_i32 s1, s25, s1
	s_add_i32 s1, s1, s24
	s_mul_i32 s26, s7, s0
	s_mul_i32 s25, s0, s1
	s_mul_hi_u32 s27, s0, s26
	s_mul_hi_u32 s24, s0, s1
	s_add_u32 s25, s27, s25
	s_addc_u32 s24, 0, s24
	s_mul_hi_u32 s28, s19, s26
	s_mul_i32 s26, s19, s26
	s_add_u32 s25, s25, s26
	s_mul_hi_u32 s27, s19, s1
	s_addc_u32 s24, s24, s28
	s_addc_u32 s25, s27, 0
	s_mul_i32 s1, s19, s1
	s_add_u32 s1, s24, s1
	s_addc_u32 s24, 0, s25
	s_add_u32 s25, s0, s1
	s_cselect_b64 s[0:1], -1, 0
	s_cmp_lg_u64 s[0:1], 0
	s_addc_u32 s19, s19, s24
	s_mul_i32 s0, s7, s19
	s_mul_hi_u32 s1, s7, s25
	s_add_i32 s0, s1, s0
	s_mul_i32 s18, s18, s25
	s_add_i32 s0, s0, s18
	s_mul_i32 s7, s7, s25
	s_mul_hi_u32 s18, s19, s7
	s_mul_i32 s24, s19, s7
	s_mul_i32 s27, s25, s0
	s_mul_hi_u32 s7, s25, s7
	s_mul_hi_u32 s26, s25, s0
	s_add_u32 s7, s7, s27
	s_addc_u32 s26, 0, s26
	s_add_u32 s7, s7, s24
	s_mul_hi_u32 s1, s19, s0
	s_addc_u32 s7, s26, s18
	s_addc_u32 s1, s1, 0
	s_mul_i32 s0, s19, s0
	s_add_u32 s0, s7, s0
	s_addc_u32 s7, 0, s1
	s_add_u32 s18, s25, s0
	s_cselect_b64 s[0:1], -1, 0
	s_cmp_lg_u64 s[0:1], 0
	v_add_co_u32_e32 v4, vcc, v10, v16
	s_addc_u32 s7, s19, s7
	v_xor_b32_e32 v17, v4, v16
	v_mad_u64_u32 v[4:5], s[0:1], v17, s7, 0
	v_mul_hi_u32 v15, v17, s18
	v_addc_co_u32_e32 v14, vcc, v11, v16, vcc
	v_xor_b32_e32 v18, v14, v16
	v_add_co_u32_e32 v19, vcc, v15, v4
	v_addc_co_u32_e32 v20, vcc, 0, v5, vcc
	v_mad_u64_u32 v[4:5], s[0:1], v18, s18, 0
	v_mad_u64_u32 v[14:15], s[0:1], v18, s7, 0
	v_add_co_u32_e32 v4, vcc, v19, v4
	v_addc_co_u32_e32 v4, vcc, v20, v5, vcc
	v_addc_co_u32_e32 v5, vcc, 0, v15, vcc
	v_add_co_u32_e32 v14, vcc, v4, v14
	v_addc_co_u32_e32 v15, vcc, 0, v5, vcc
	v_mul_lo_u32 v19, s13, v14
	v_mul_lo_u32 v20, s12, v15
	v_mad_u64_u32 v[4:5], s[0:1], s12, v14, 0
	v_add3_u32 v5, v5, v20, v19
	v_sub_u32_e32 v19, v18, v5
	v_mov_b32_e32 v20, s13
	v_sub_co_u32_e32 v4, vcc, v17, v4
	v_subb_co_u32_e64 v17, s[0:1], v19, v20, vcc
	v_subrev_co_u32_e64 v19, s[0:1], s12, v4
	v_subbrev_co_u32_e64 v17, s[0:1], 0, v17, s[0:1]
	v_cmp_le_u32_e64 s[0:1], s13, v17
	v_cndmask_b32_e64 v20, 0, -1, s[0:1]
	v_cmp_le_u32_e64 s[0:1], s12, v19
	v_cndmask_b32_e64 v19, 0, -1, s[0:1]
	v_cmp_eq_u32_e64 s[0:1], s13, v17
	v_cndmask_b32_e64 v17, v20, v19, s[0:1]
	v_add_co_u32_e64 v19, s[0:1], 2, v14
	v_subb_co_u32_e32 v5, vcc, v18, v5, vcc
	v_addc_co_u32_e64 v20, s[0:1], 0, v15, s[0:1]
	v_cmp_le_u32_e32 vcc, s13, v5
	v_add_co_u32_e64 v21, s[0:1], 1, v14
	v_cndmask_b32_e64 v18, 0, -1, vcc
	v_cmp_le_u32_e32 vcc, s12, v4
	v_addc_co_u32_e64 v22, s[0:1], 0, v15, s[0:1]
	v_cndmask_b32_e64 v4, 0, -1, vcc
	v_cmp_eq_u32_e32 vcc, s13, v5
	v_cmp_ne_u32_e64 s[0:1], 0, v17
	v_cndmask_b32_e32 v4, v18, v4, vcc
	v_cndmask_b32_e64 v17, v22, v20, s[0:1]
	v_cmp_ne_u32_e32 vcc, 0, v4
	v_cndmask_b32_e64 v5, v21, v19, s[0:1]
	v_cndmask_b32_e32 v4, v15, v17, vcc
	v_cndmask_b32_e32 v5, v14, v5, vcc
	v_xor_b32_e32 v14, s6, v16
	v_xor_b32_e32 v15, v4, v14
	;; [unrolled: 1-line block ×3, first 2 shown]
	v_sub_co_u32_e32 v4, vcc, v4, v14
	v_subb_co_u32_e32 v5, vcc, v15, v14, vcc
.LBB12_19:
	s_andn2_saveexec_b64 s[0:1], s[2:3]
	s_cbranch_execz .LBB12_21
; %bb.20:
	v_cvt_f32_u32_e32 v4, s16
	s_sub_i32 s2, 0, s16
	v_rcp_iflag_f32_e32 v4, v4
	v_mul_f32_e32 v4, 0x4f7ffffe, v4
	v_cvt_u32_f32_e32 v4, v4
	v_mul_lo_u32 v5, s2, v4
	v_mul_hi_u32 v5, v4, v5
	v_add_u32_e32 v4, v4, v5
	v_mul_hi_u32 v4, v10, v4
	v_mul_lo_u32 v5, v4, s16
	v_add_u32_e32 v14, 1, v4
	v_sub_u32_e32 v5, v10, v5
	v_subrev_u32_e32 v15, s16, v5
	v_cmp_le_u32_e32 vcc, s16, v5
	v_cndmask_b32_e32 v5, v5, v15, vcc
	v_cndmask_b32_e32 v4, v4, v14, vcc
	v_add_u32_e32 v14, 1, v4
	v_cmp_le_u32_e32 vcc, s16, v5
	v_cndmask_b32_e32 v4, v4, v14, vcc
	v_mov_b32_e32 v5, 0
.LBB12_21:
	s_or_b64 exec, exec, s[0:1]
	v_mul_lo_u32 v16, s17, v4
	v_mul_lo_u32 v17, s16, v5
	v_mad_u64_u32 v[14:15], s[0:1], s16, v4, 0
	v_add3_u32 v15, v15, v17, v16
	v_sub_co_u32_e32 v14, vcc, v10, v14
	v_subb_co_u32_e32 v15, vcc, v11, v15, vcc
	v_or_b32_e32 v11, s41, v15
	v_mov_b32_e32 v10, 0
	v_cmp_ne_u64_e32 vcc, 0, v[10:11]
                                        ; implicit-def: $vgpr10_vgpr11
	s_and_saveexec_b64 s[0:1], vcc
	s_xor_b64 s[2:3], exec, s[0:1]
	s_cbranch_execz .LBB12_23
; %bb.22:
	s_ashr_i32 s6, s41, 31
	s_add_u32 s0, s40, s6
	s_mov_b32 s7, s6
	s_addc_u32 s1, s41, s6
	s_xor_b64 s[12:13], s[0:1], s[6:7]
	v_cvt_f32_u32_e32 v10, s12
	v_cvt_f32_u32_e32 v11, s13
	s_sub_u32 s7, 0, s12
	s_subb_u32 s16, 0, s13
	v_ashrrev_i32_e32 v18, 31, v15
	v_madmk_f32 v10, v11, 0x4f800000, v10
	v_rcp_f32_e32 v10, v10
	v_mul_f32_e32 v10, 0x5f7ffffc, v10
	v_mul_f32_e32 v11, 0x2f800000, v10
	v_trunc_f32_e32 v11, v11
	v_madmk_f32 v10, v11, 0xcf800000, v10
	v_cvt_u32_f32_e32 v11, v11
	v_cvt_u32_f32_e32 v10, v10
	v_readfirstlane_b32 s17, v11
	v_readfirstlane_b32 s0, v10
	s_mul_i32 s1, s7, s17
	s_mul_hi_u32 s19, s7, s0
	s_mul_i32 s18, s16, s0
	s_add_i32 s1, s19, s1
	s_add_i32 s1, s1, s18
	s_mul_i32 s24, s7, s0
	s_mul_i32 s19, s0, s1
	s_mul_hi_u32 s25, s0, s24
	s_mul_hi_u32 s18, s0, s1
	s_add_u32 s19, s25, s19
	s_addc_u32 s18, 0, s18
	s_mul_hi_u32 s26, s17, s24
	s_mul_i32 s24, s17, s24
	s_add_u32 s19, s19, s24
	s_mul_hi_u32 s25, s17, s1
	s_addc_u32 s18, s18, s26
	s_addc_u32 s19, s25, 0
	s_mul_i32 s1, s17, s1
	s_add_u32 s1, s18, s1
	s_addc_u32 s18, 0, s19
	s_add_u32 s19, s0, s1
	s_cselect_b64 s[0:1], -1, 0
	s_cmp_lg_u64 s[0:1], 0
	s_addc_u32 s17, s17, s18
	s_mul_i32 s0, s7, s17
	s_mul_hi_u32 s1, s7, s19
	s_add_i32 s0, s1, s0
	s_mul_i32 s16, s16, s19
	s_add_i32 s0, s0, s16
	s_mul_i32 s7, s7, s19
	s_mul_hi_u32 s16, s17, s7
	s_mul_i32 s18, s17, s7
	s_mul_i32 s25, s19, s0
	s_mul_hi_u32 s7, s19, s7
	s_mul_hi_u32 s24, s19, s0
	s_add_u32 s7, s7, s25
	s_addc_u32 s24, 0, s24
	s_add_u32 s7, s7, s18
	s_mul_hi_u32 s1, s17, s0
	s_addc_u32 s7, s24, s16
	s_addc_u32 s1, s1, 0
	s_mul_i32 s0, s17, s0
	s_add_u32 s0, s7, s0
	s_addc_u32 s7, 0, s1
	s_add_u32 s16, s19, s0
	s_cselect_b64 s[0:1], -1, 0
	s_cmp_lg_u64 s[0:1], 0
	v_add_co_u32_e32 v10, vcc, v14, v18
	s_addc_u32 s7, s17, s7
	v_xor_b32_e32 v19, v10, v18
	v_mad_u64_u32 v[10:11], s[0:1], v19, s7, 0
	v_mul_hi_u32 v17, v19, s16
	v_addc_co_u32_e32 v16, vcc, v15, v18, vcc
	v_xor_b32_e32 v20, v16, v18
	v_add_co_u32_e32 v21, vcc, v17, v10
	v_addc_co_u32_e32 v22, vcc, 0, v11, vcc
	v_mad_u64_u32 v[10:11], s[0:1], v20, s16, 0
	v_mad_u64_u32 v[16:17], s[0:1], v20, s7, 0
	v_add_co_u32_e32 v10, vcc, v21, v10
	v_addc_co_u32_e32 v10, vcc, v22, v11, vcc
	v_addc_co_u32_e32 v11, vcc, 0, v17, vcc
	v_add_co_u32_e32 v16, vcc, v10, v16
	v_addc_co_u32_e32 v17, vcc, 0, v11, vcc
	v_mul_lo_u32 v21, s13, v16
	v_mul_lo_u32 v22, s12, v17
	v_mad_u64_u32 v[10:11], s[0:1], s12, v16, 0
	v_add3_u32 v11, v11, v22, v21
	v_sub_u32_e32 v21, v20, v11
	v_mov_b32_e32 v22, s13
	v_sub_co_u32_e32 v10, vcc, v19, v10
	v_subb_co_u32_e64 v19, s[0:1], v21, v22, vcc
	v_subrev_co_u32_e64 v21, s[0:1], s12, v10
	v_subbrev_co_u32_e64 v19, s[0:1], 0, v19, s[0:1]
	v_cmp_le_u32_e64 s[0:1], s13, v19
	v_cndmask_b32_e64 v22, 0, -1, s[0:1]
	v_cmp_le_u32_e64 s[0:1], s12, v21
	v_cndmask_b32_e64 v21, 0, -1, s[0:1]
	v_cmp_eq_u32_e64 s[0:1], s13, v19
	v_cndmask_b32_e64 v19, v22, v21, s[0:1]
	v_add_co_u32_e64 v21, s[0:1], 2, v16
	v_subb_co_u32_e32 v11, vcc, v20, v11, vcc
	v_addc_co_u32_e64 v22, s[0:1], 0, v17, s[0:1]
	v_cmp_le_u32_e32 vcc, s13, v11
	v_add_co_u32_e64 v23, s[0:1], 1, v16
	v_cndmask_b32_e64 v20, 0, -1, vcc
	v_cmp_le_u32_e32 vcc, s12, v10
	v_addc_co_u32_e64 v24, s[0:1], 0, v17, s[0:1]
	v_cndmask_b32_e64 v10, 0, -1, vcc
	v_cmp_eq_u32_e32 vcc, s13, v11
	v_cmp_ne_u32_e64 s[0:1], 0, v19
	v_cndmask_b32_e32 v10, v20, v10, vcc
	v_cndmask_b32_e64 v19, v24, v22, s[0:1]
	v_cmp_ne_u32_e32 vcc, 0, v10
	v_cndmask_b32_e64 v11, v23, v21, s[0:1]
	v_cndmask_b32_e32 v10, v17, v19, vcc
	v_cndmask_b32_e32 v11, v16, v11, vcc
	v_xor_b32_e32 v16, s6, v18
	v_xor_b32_e32 v17, v10, v16
	;; [unrolled: 1-line block ×3, first 2 shown]
	v_sub_co_u32_e32 v10, vcc, v10, v16
	v_subb_co_u32_e32 v11, vcc, v17, v16, vcc
.LBB12_23:
	s_andn2_saveexec_b64 s[0:1], s[2:3]
	s_cbranch_execz .LBB12_25
; %bb.24:
	v_cvt_f32_u32_e32 v10, s40
	s_sub_i32 s2, 0, s40
	v_rcp_iflag_f32_e32 v10, v10
	v_mul_f32_e32 v10, 0x4f7ffffe, v10
	v_cvt_u32_f32_e32 v10, v10
	v_mul_lo_u32 v11, s2, v10
	v_mul_hi_u32 v11, v10, v11
	v_add_u32_e32 v10, v10, v11
	v_mul_hi_u32 v10, v14, v10
	v_mul_lo_u32 v11, v10, s40
	v_add_u32_e32 v16, 1, v10
	v_sub_u32_e32 v11, v14, v11
	v_subrev_u32_e32 v17, s40, v11
	v_cmp_le_u32_e32 vcc, s40, v11
	v_cndmask_b32_e32 v11, v11, v17, vcc
	v_cndmask_b32_e32 v10, v10, v16, vcc
	v_add_u32_e32 v16, 1, v10
	v_cmp_le_u32_e32 vcc, s40, v11
	v_cndmask_b32_e32 v10, v10, v16, vcc
	v_mov_b32_e32 v11, 0
.LBB12_25:
	s_or_b64 exec, exec, s[0:1]
	v_mul_lo_u32 v18, v7, s14
	v_mul_lo_u32 v19, v6, s15
	v_mad_u64_u32 v[16:17], s[0:1], v6, s14, 0
	v_mul_lo_u32 v7, v7, s22
	v_mul_lo_u32 v3, v3, s36
	v_add3_u32 v17, v17, v19, v18
	v_sub_co_u32_e32 v16, vcc, v12, v16
	v_subb_co_u32_e32 v17, vcc, v13, v17, vcc
	v_mov_b32_e32 v12, s8
	v_mov_b32_e32 v13, s9
	v_mul_lo_u32 v18, v16, s21
	v_mul_lo_u32 v17, v17, s20
	v_mad_u64_u32 v[12:13], s[0:1], v16, s20, v[12:13]
	v_mul_lo_u32 v1, v1, s38
	v_add3_u32 v13, v17, v13, v18
	v_mad_u64_u32 v[12:13], s[0:1], v6, s22, v[12:13]
	v_mul_lo_u32 v6, v6, s23
	v_add3_u32 v13, v7, v13, v6
	v_mad_u64_u32 v[6:7], s[0:1], v2, s36, v[12:13]
	v_mul_lo_u32 v2, v2, s37
	v_mul_lo_u32 v12, v10, s41
	v_add3_u32 v7, v3, v7, v2
	v_mad_u64_u32 v[2:3], s[0:1], v0, s38, v[6:7]
	v_mul_lo_u32 v0, v0, s39
	v_mul_lo_u32 v7, v11, s40
	v_add3_u32 v3, v1, v3, v0
	global_load_dword v6, v[2:3], off
	v_mad_u64_u32 v[0:1], s[0:1], v10, s40, 0
	v_mov_b32_e32 v2, s10
	v_mov_b32_e32 v3, s11
	v_add3_u32 v1, v1, v12, v7
	v_sub_co_u32_e32 v0, vcc, v14, v0
	v_subb_co_u32_e32 v1, vcc, v15, v1, vcc
	v_mul_lo_u32 v7, v0, s47
	v_mul_lo_u32 v12, v1, s46
	v_mad_u64_u32 v[0:1], s[0:1], v0, s46, v[2:3]
	v_mul_lo_u32 v2, v10, s49
	v_mul_lo_u32 v3, v11, s48
	v_add3_u32 v1, v12, v1, v7
	v_mad_u64_u32 v[0:1], s[0:1], v10, s48, v[0:1]
	v_add3_u32 v1, v3, v1, v2
	v_mad_u64_u32 v[0:1], s[0:1], v4, s50, v[0:1]
	v_mul_lo_u32 v2, v4, s51
	v_mul_lo_u32 v3, v5, s50
	s_load_dwordx2 s[0:1], s[4:5], 0x80
	v_add3_u32 v1, v3, v1, v2
	s_waitcnt lgkmcnt(0)
	v_mad_u64_u32 v[0:1], s[2:3], v8, s0, v[0:1]
	v_mul_lo_u32 v2, v8, s1
	v_mul_lo_u32 v3, v9, s0
	v_add3_u32 v1, v3, v1, v2
	s_waitcnt vmcnt(0)
	global_store_dword v[0:1], v6, off
.LBB12_26:
	s_endpgm
	.section	.rodata,"a",@progbits
	.p2align	6, 0x0
	.amdhsa_kernel _ZL10cpy_scalarIXadL_ZL12cpy_1_scalarIffEvPKcPcEEEvS2_S3_lllllllllllllll
		.amdhsa_group_segment_fixed_size 0
		.amdhsa_private_segment_fixed_size 0
		.amdhsa_kernarg_size 392
		.amdhsa_user_sgpr_count 6
		.amdhsa_user_sgpr_private_segment_buffer 1
		.amdhsa_user_sgpr_dispatch_ptr 0
		.amdhsa_user_sgpr_queue_ptr 0
		.amdhsa_user_sgpr_kernarg_segment_ptr 1
		.amdhsa_user_sgpr_dispatch_id 0
		.amdhsa_user_sgpr_flat_scratch_init 0
		.amdhsa_user_sgpr_private_segment_size 0
		.amdhsa_uses_dynamic_stack 0
		.amdhsa_system_sgpr_private_segment_wavefront_offset 0
		.amdhsa_system_sgpr_workgroup_id_x 1
		.amdhsa_system_sgpr_workgroup_id_y 0
		.amdhsa_system_sgpr_workgroup_id_z 0
		.amdhsa_system_sgpr_workgroup_info 0
		.amdhsa_system_vgpr_workitem_id 0
		.amdhsa_next_free_vgpr 25
		.amdhsa_next_free_sgpr 52
		.amdhsa_reserve_vcc 1
		.amdhsa_reserve_flat_scratch 0
		.amdhsa_float_round_mode_32 0
		.amdhsa_float_round_mode_16_64 0
		.amdhsa_float_denorm_mode_32 3
		.amdhsa_float_denorm_mode_16_64 3
		.amdhsa_dx10_clamp 1
		.amdhsa_ieee_mode 1
		.amdhsa_fp16_overflow 0
		.amdhsa_exception_fp_ieee_invalid_op 0
		.amdhsa_exception_fp_denorm_src 0
		.amdhsa_exception_fp_ieee_div_zero 0
		.amdhsa_exception_fp_ieee_overflow 0
		.amdhsa_exception_fp_ieee_underflow 0
		.amdhsa_exception_fp_ieee_inexact 0
		.amdhsa_exception_int_div_zero 0
	.end_amdhsa_kernel
	.section	.text._ZL10cpy_scalarIXadL_ZL12cpy_1_scalarIffEvPKcPcEEEvS2_S3_lllllllllllllll,"axG",@progbits,_ZL10cpy_scalarIXadL_ZL12cpy_1_scalarIffEvPKcPcEEEvS2_S3_lllllllllllllll,comdat
.Lfunc_end12:
	.size	_ZL10cpy_scalarIXadL_ZL12cpy_1_scalarIffEvPKcPcEEEvS2_S3_lllllllllllllll, .Lfunc_end12-_ZL10cpy_scalarIXadL_ZL12cpy_1_scalarIffEvPKcPcEEEvS2_S3_lllllllllllllll
                                        ; -- End function
	.set _ZL10cpy_scalarIXadL_ZL12cpy_1_scalarIffEvPKcPcEEEvS2_S3_lllllllllllllll.num_vgpr, 25
	.set _ZL10cpy_scalarIXadL_ZL12cpy_1_scalarIffEvPKcPcEEEvS2_S3_lllllllllllllll.num_agpr, 0
	.set _ZL10cpy_scalarIXadL_ZL12cpy_1_scalarIffEvPKcPcEEEvS2_S3_lllllllllllllll.numbered_sgpr, 52
	.set _ZL10cpy_scalarIXadL_ZL12cpy_1_scalarIffEvPKcPcEEEvS2_S3_lllllllllllllll.num_named_barrier, 0
	.set _ZL10cpy_scalarIXadL_ZL12cpy_1_scalarIffEvPKcPcEEEvS2_S3_lllllllllllllll.private_seg_size, 0
	.set _ZL10cpy_scalarIXadL_ZL12cpy_1_scalarIffEvPKcPcEEEvS2_S3_lllllllllllllll.uses_vcc, 1
	.set _ZL10cpy_scalarIXadL_ZL12cpy_1_scalarIffEvPKcPcEEEvS2_S3_lllllllllllllll.uses_flat_scratch, 0
	.set _ZL10cpy_scalarIXadL_ZL12cpy_1_scalarIffEvPKcPcEEEvS2_S3_lllllllllllllll.has_dyn_sized_stack, 0
	.set _ZL10cpy_scalarIXadL_ZL12cpy_1_scalarIffEvPKcPcEEEvS2_S3_lllllllllllllll.has_recursion, 0
	.set _ZL10cpy_scalarIXadL_ZL12cpy_1_scalarIffEvPKcPcEEEvS2_S3_lllllllllllllll.has_indirect_call, 0
	.section	.AMDGPU.csdata,"",@progbits
; Kernel info:
; codeLenInByte = 5196
; TotalNumSgprs: 56
; NumVgprs: 25
; ScratchSize: 0
; MemoryBound: 0
; FloatMode: 240
; IeeeMode: 1
; LDSByteSize: 0 bytes/workgroup (compile time only)
; SGPRBlocks: 6
; VGPRBlocks: 6
; NumSGPRsForWavesPerEU: 56
; NumVGPRsForWavesPerEU: 25
; Occupancy: 9
; WaveLimiterHint : 0
; COMPUTE_PGM_RSRC2:SCRATCH_EN: 0
; COMPUTE_PGM_RSRC2:USER_SGPR: 6
; COMPUTE_PGM_RSRC2:TRAP_HANDLER: 0
; COMPUTE_PGM_RSRC2:TGID_X_EN: 1
; COMPUTE_PGM_RSRC2:TGID_Y_EN: 0
; COMPUTE_PGM_RSRC2:TGID_Z_EN: 0
; COMPUTE_PGM_RSRC2:TIDIG_COMP_CNT: 0
	.section	.text._ZL21cpy_scalar_contiguousIf14__hip_bfloat16EvPKcPcl,"axG",@progbits,_ZL21cpy_scalar_contiguousIf14__hip_bfloat16EvPKcPcl,comdat
	.globl	_ZL21cpy_scalar_contiguousIf14__hip_bfloat16EvPKcPcl ; -- Begin function _ZL21cpy_scalar_contiguousIf14__hip_bfloat16EvPKcPcl
	.p2align	8
	.type	_ZL21cpy_scalar_contiguousIf14__hip_bfloat16EvPKcPcl,@function
_ZL21cpy_scalar_contiguousIf14__hip_bfloat16EvPKcPcl: ; @_ZL21cpy_scalar_contiguousIf14__hip_bfloat16EvPKcPcl
; %bb.0:
	s_load_dword s2, s[4:5], 0x24
	s_load_dwordx2 s[0:1], s[4:5], 0x10
	v_mov_b32_e32 v1, 0
	v_mov_b32_e32 v2, s6
	s_waitcnt lgkmcnt(0)
	s_and_b32 s2, s2, 0xffff
	v_mad_u64_u32 v[0:1], s[2:3], s2, v2, v[0:1]
	v_cmp_gt_i64_e32 vcc, s[0:1], v[0:1]
	s_and_saveexec_b64 s[0:1], vcc
	s_cbranch_execz .LBB13_2
; %bb.1:
	s_load_dwordx4 s[0:3], s[4:5], 0x0
	v_lshlrev_b64 v[2:3], 2, v[0:1]
	v_lshlrev_b64 v[0:1], 1, v[0:1]
	s_waitcnt lgkmcnt(0)
	v_mov_b32_e32 v4, s1
	v_add_co_u32_e32 v2, vcc, s0, v2
	v_addc_co_u32_e32 v3, vcc, v4, v3, vcc
	global_load_dword v2, v[2:3], off
	v_mov_b32_e32 v3, s3
	v_add_co_u32_e32 v0, vcc, s2, v0
	s_movk_i32 s0, 0x7fff
	v_addc_co_u32_e32 v1, vcc, v3, v1, vcc
	s_waitcnt vmcnt(0)
	v_bfe_u32 v3, v2, 16, 1
	v_or_b32_e32 v4, 0x400000, v2
	v_add3_u32 v3, v3, v2, s0
	v_cmp_u_f32_e32 vcc, v2, v2
	v_cndmask_b32_e32 v2, v3, v4, vcc
	global_store_short_d16_hi v[0:1], v2, off
.LBB13_2:
	s_endpgm
	.section	.rodata,"a",@progbits
	.p2align	6, 0x0
	.amdhsa_kernel _ZL21cpy_scalar_contiguousIf14__hip_bfloat16EvPKcPcl
		.amdhsa_group_segment_fixed_size 0
		.amdhsa_private_segment_fixed_size 0
		.amdhsa_kernarg_size 280
		.amdhsa_user_sgpr_count 6
		.amdhsa_user_sgpr_private_segment_buffer 1
		.amdhsa_user_sgpr_dispatch_ptr 0
		.amdhsa_user_sgpr_queue_ptr 0
		.amdhsa_user_sgpr_kernarg_segment_ptr 1
		.amdhsa_user_sgpr_dispatch_id 0
		.amdhsa_user_sgpr_flat_scratch_init 0
		.amdhsa_user_sgpr_private_segment_size 0
		.amdhsa_uses_dynamic_stack 0
		.amdhsa_system_sgpr_private_segment_wavefront_offset 0
		.amdhsa_system_sgpr_workgroup_id_x 1
		.amdhsa_system_sgpr_workgroup_id_y 0
		.amdhsa_system_sgpr_workgroup_id_z 0
		.amdhsa_system_sgpr_workgroup_info 0
		.amdhsa_system_vgpr_workitem_id 0
		.amdhsa_next_free_vgpr 5
		.amdhsa_next_free_sgpr 7
		.amdhsa_reserve_vcc 1
		.amdhsa_reserve_flat_scratch 0
		.amdhsa_float_round_mode_32 0
		.amdhsa_float_round_mode_16_64 0
		.amdhsa_float_denorm_mode_32 3
		.amdhsa_float_denorm_mode_16_64 3
		.amdhsa_dx10_clamp 1
		.amdhsa_ieee_mode 1
		.amdhsa_fp16_overflow 0
		.amdhsa_exception_fp_ieee_invalid_op 0
		.amdhsa_exception_fp_denorm_src 0
		.amdhsa_exception_fp_ieee_div_zero 0
		.amdhsa_exception_fp_ieee_overflow 0
		.amdhsa_exception_fp_ieee_underflow 0
		.amdhsa_exception_fp_ieee_inexact 0
		.amdhsa_exception_int_div_zero 0
	.end_amdhsa_kernel
	.section	.text._ZL21cpy_scalar_contiguousIf14__hip_bfloat16EvPKcPcl,"axG",@progbits,_ZL21cpy_scalar_contiguousIf14__hip_bfloat16EvPKcPcl,comdat
.Lfunc_end13:
	.size	_ZL21cpy_scalar_contiguousIf14__hip_bfloat16EvPKcPcl, .Lfunc_end13-_ZL21cpy_scalar_contiguousIf14__hip_bfloat16EvPKcPcl
                                        ; -- End function
	.set _ZL21cpy_scalar_contiguousIf14__hip_bfloat16EvPKcPcl.num_vgpr, 5
	.set _ZL21cpy_scalar_contiguousIf14__hip_bfloat16EvPKcPcl.num_agpr, 0
	.set _ZL21cpy_scalar_contiguousIf14__hip_bfloat16EvPKcPcl.numbered_sgpr, 7
	.set _ZL21cpy_scalar_contiguousIf14__hip_bfloat16EvPKcPcl.num_named_barrier, 0
	.set _ZL21cpy_scalar_contiguousIf14__hip_bfloat16EvPKcPcl.private_seg_size, 0
	.set _ZL21cpy_scalar_contiguousIf14__hip_bfloat16EvPKcPcl.uses_vcc, 1
	.set _ZL21cpy_scalar_contiguousIf14__hip_bfloat16EvPKcPcl.uses_flat_scratch, 0
	.set _ZL21cpy_scalar_contiguousIf14__hip_bfloat16EvPKcPcl.has_dyn_sized_stack, 0
	.set _ZL21cpy_scalar_contiguousIf14__hip_bfloat16EvPKcPcl.has_recursion, 0
	.set _ZL21cpy_scalar_contiguousIf14__hip_bfloat16EvPKcPcl.has_indirect_call, 0
	.section	.AMDGPU.csdata,"",@progbits
; Kernel info:
; codeLenInByte = 168
; TotalNumSgprs: 11
; NumVgprs: 5
; ScratchSize: 0
; MemoryBound: 0
; FloatMode: 240
; IeeeMode: 1
; LDSByteSize: 0 bytes/workgroup (compile time only)
; SGPRBlocks: 1
; VGPRBlocks: 1
; NumSGPRsForWavesPerEU: 11
; NumVGPRsForWavesPerEU: 5
; Occupancy: 10
; WaveLimiterHint : 0
; COMPUTE_PGM_RSRC2:SCRATCH_EN: 0
; COMPUTE_PGM_RSRC2:USER_SGPR: 6
; COMPUTE_PGM_RSRC2:TRAP_HANDLER: 0
; COMPUTE_PGM_RSRC2:TGID_X_EN: 1
; COMPUTE_PGM_RSRC2:TGID_Y_EN: 0
; COMPUTE_PGM_RSRC2:TGID_Z_EN: 0
; COMPUTE_PGM_RSRC2:TIDIG_COMP_CNT: 0
	.section	.text._ZL20cpy_scalar_transposeI14__hip_bfloat16EvPKcPclllllllllllllll,"axG",@progbits,_ZL20cpy_scalar_transposeI14__hip_bfloat16EvPKcPclllllllllllllll,comdat
	.globl	_ZL20cpy_scalar_transposeI14__hip_bfloat16EvPKcPclllllllllllllll ; -- Begin function _ZL20cpy_scalar_transposeI14__hip_bfloat16EvPKcPclllllllllllllll
	.p2align	8
	.type	_ZL20cpy_scalar_transposeI14__hip_bfloat16EvPKcPclllllllllllllll,@function
_ZL20cpy_scalar_transposeI14__hip_bfloat16EvPKcPclllllllllllllll: ; @_ZL20cpy_scalar_transposeI14__hip_bfloat16EvPKcPclllllllllllllll
; %bb.0:
	s_load_dwordx8 s[12:19], s[4:5], 0x0
	s_load_dwordx2 s[10:11], s[4:5], 0x20
	s_waitcnt lgkmcnt(0)
	s_mul_i32 s0, s10, s19
	s_mul_hi_u32 s1, s10, s18
	s_add_i32 s0, s1, s0
	s_mul_i32 s1, s11, s18
	s_add_i32 s21, s0, s1
	s_mul_i32 s20, s10, s18
	s_or_b64 s[0:1], s[16:17], s[20:21]
	s_mov_b32 s0, 0
	s_cmp_lg_u64 s[0:1], 0
	s_cbranch_scc0 .LBB14_127
; %bb.1:
	s_ashr_i32 s0, s21, 31
	s_add_u32 s2, s20, s0
	s_mov_b32 s1, s0
	s_addc_u32 s3, s21, s0
	s_xor_b64 s[4:5], s[2:3], s[0:1]
	v_cvt_f32_u32_e32 v2, s4
	v_cvt_f32_u32_e32 v3, s5
	s_sub_u32 s9, 0, s4
	s_subb_u32 s24, 0, s5
	v_madmk_f32 v2, v3, 0x4f800000, v2
	v_rcp_f32_e32 v2, v2
	v_mul_f32_e32 v2, 0x5f7ffffc, v2
	v_mul_f32_e32 v3, 0x2f800000, v2
	v_trunc_f32_e32 v3, v3
	v_madmk_f32 v2, v3, 0xcf800000, v2
	v_cvt_u32_f32_e32 v3, v3
	v_cvt_u32_f32_e32 v2, v2
	v_readfirstlane_b32 s25, v3
	v_readfirstlane_b32 s22, v2
	s_mul_i32 s23, s9, s25
	s_mul_hi_u32 s27, s9, s22
	s_mul_i32 s26, s24, s22
	s_add_i32 s23, s27, s23
	s_add_i32 s23, s23, s26
	s_mul_i32 s28, s9, s22
	s_mul_i32 s27, s22, s23
	s_mul_hi_u32 s29, s22, s28
	s_mul_hi_u32 s26, s22, s23
	s_add_u32 s27, s29, s27
	s_addc_u32 s26, 0, s26
	s_mul_hi_u32 s30, s25, s28
	s_mul_i32 s28, s25, s28
	s_add_u32 s27, s27, s28
	s_mul_hi_u32 s29, s25, s23
	s_addc_u32 s26, s26, s30
	s_addc_u32 s27, s29, 0
	s_mul_i32 s23, s25, s23
	s_add_u32 s23, s26, s23
	s_addc_u32 s26, 0, s27
	s_add_u32 s27, s22, s23
	s_cselect_b64 s[22:23], -1, 0
	s_cmp_lg_u64 s[22:23], 0
	s_addc_u32 s25, s25, s26
	s_mul_i32 s22, s9, s25
	s_mul_hi_u32 s23, s9, s27
	s_add_i32 s22, s23, s22
	s_mul_i32 s24, s24, s27
	s_add_i32 s22, s22, s24
	s_mul_i32 s9, s9, s27
	s_mul_hi_u32 s24, s25, s9
	s_mul_i32 s26, s25, s9
	s_mul_i32 s29, s27, s22
	s_mul_hi_u32 s9, s27, s9
	s_mul_hi_u32 s28, s27, s22
	s_add_u32 s9, s9, s29
	s_addc_u32 s28, 0, s28
	s_add_u32 s9, s9, s26
	s_mul_hi_u32 s23, s25, s22
	s_addc_u32 s9, s28, s24
	s_addc_u32 s23, s23, 0
	s_mul_i32 s22, s25, s22
	s_add_u32 s9, s9, s22
	s_addc_u32 s24, 0, s23
	s_add_u32 s9, s27, s9
	s_cselect_b64 s[22:23], -1, 0
	s_cmp_lg_u64 s[22:23], 0
	s_addc_u32 s26, s25, s24
	s_ashr_i32 s22, s17, 31
	s_add_u32 s24, s16, s22
	s_mov_b32 s23, s22
	s_addc_u32 s25, s17, s22
	s_xor_b64 s[24:25], s[24:25], s[22:23]
	s_mul_i32 s27, s24, s26
	s_mul_hi_u32 s28, s24, s9
	s_mul_hi_u32 s17, s24, s26
	s_add_u32 s27, s28, s27
	s_addc_u32 s17, 0, s17
	s_mul_hi_u32 s29, s25, s9
	s_mul_i32 s9, s25, s9
	s_add_u32 s9, s27, s9
	s_mul_hi_u32 s28, s25, s26
	s_addc_u32 s9, s17, s29
	s_addc_u32 s17, s28, 0
	s_mul_i32 s26, s25, s26
	s_add_u32 s9, s9, s26
	s_addc_u32 s17, 0, s17
	s_mul_i32 s26, s4, s17
	s_mul_hi_u32 s27, s4, s9
	s_add_i32 s26, s27, s26
	s_mul_i32 s27, s5, s9
	s_add_i32 s30, s26, s27
	s_sub_i32 s28, s25, s30
	s_mul_i32 s26, s4, s9
	s_sub_u32 s24, s24, s26
	s_cselect_b64 s[26:27], -1, 0
	s_cmp_lg_u64 s[26:27], 0
	s_subb_u32 s31, s28, s5
	s_sub_u32 s33, s24, s4
	s_cselect_b64 s[28:29], -1, 0
	s_cmp_lg_u64 s[28:29], 0
	s_subb_u32 s28, s31, 0
	s_cmp_ge_u32 s28, s5
	s_cselect_b32 s29, -1, 0
	s_cmp_ge_u32 s33, s4
	s_cselect_b32 s31, -1, 0
	s_cmp_eq_u32 s28, s5
	s_cselect_b32 s28, s31, s29
	s_add_u32 s29, s9, 1
	s_addc_u32 s31, s17, 0
	s_add_u32 s33, s9, 2
	s_addc_u32 s34, s17, 0
	s_cmp_lg_u32 s28, 0
	s_cselect_b32 s28, s33, s29
	s_cselect_b32 s29, s34, s31
	s_cmp_lg_u64 s[26:27], 0
	s_subb_u32 s25, s25, s30
	s_cmp_ge_u32 s25, s5
	s_cselect_b32 s26, -1, 0
	s_cmp_ge_u32 s24, s4
	s_cselect_b32 s4, -1, 0
	s_cmp_eq_u32 s25, s5
	s_cselect_b32 s4, s4, s26
	s_cmp_lg_u32 s4, 0
	s_cselect_b32 s5, s29, s17
	s_cselect_b32 s4, s28, s9
	s_xor_b64 s[0:1], s[22:23], s[0:1]
	s_xor_b64 s[4:5], s[4:5], s[0:1]
	s_sub_u32 s22, s4, s0
	s_subb_u32 s23, s5, s1
	s_cbranch_execnz .LBB14_3
.LBB14_2:
	v_cvt_f32_u32_e32 v2, s20
	s_sub_i32 s0, 0, s20
	s_mov_b32 s23, 0
	v_rcp_iflag_f32_e32 v2, v2
	v_mul_f32_e32 v2, 0x4f7ffffe, v2
	v_cvt_u32_f32_e32 v2, v2
	v_readfirstlane_b32 s1, v2
	s_mul_i32 s0, s0, s1
	s_mul_hi_u32 s0, s1, s0
	s_add_i32 s1, s1, s0
	s_mul_hi_u32 s0, s16, s1
	s_mul_i32 s2, s0, s20
	s_sub_i32 s2, s16, s2
	s_add_i32 s1, s0, 1
	s_sub_i32 s3, s2, s20
	s_cmp_ge_u32 s2, s20
	s_cselect_b32 s0, s1, s0
	s_cselect_b32 s2, s3, s2
	s_add_i32 s1, s0, 1
	s_cmp_ge_u32 s2, s20
	s_cselect_b32 s22, s1, s0
.LBB14_3:
	s_lshl_b32 s8, s8, 3
	s_mov_b32 s9, 0
	v_mov_b32_e32 v2, s8
	v_mov_b32_e32 v3, s9
	v_cmp_le_i64_e32 vcc, s[22:23], v[2:3]
	s_cbranch_vccnz .LBB14_126
; %bb.4:
	s_lshl_b32 s9, s6, 5
	v_add_u32_e32 v3, s9, v0
	v_ashrrev_i32_e32 v4, 31, v3
	v_cmp_gt_i64_e64 s[0:1], s[10:11], v[3:4]
	v_lshlrev_b64 v[3:4], 1, v[3:4]
	s_lshl_b32 s16, s7, 5
	v_mov_b32_e32 v5, s13
	v_add_co_u32_e32 v15, vcc, s12, v3
	s_mul_i32 s2, s21, s8
	s_mul_hi_u32 s3, s20, s8
	v_add_u32_e32 v2, s16, v1
	v_mul_u32_u24_e32 v13, 0x84, v1
	v_addc_co_u32_e32 v16, vcc, v5, v4, vcc
	v_lshlrev_b32_e32 v14, 2, v0
	s_add_i32 s7, s3, s2
	s_mul_i32 s6, s20, s8
	s_and_saveexec_b64 s[4:5], s[0:1]
	s_cbranch_execz .LBB14_13
; %bb.5:
	s_lshl_b64 s[2:3], s[6:7], 1
	v_ashrrev_i32_e32 v3, 31, v2
	v_mov_b32_e32 v4, s3
	v_cmp_gt_i64_e32 vcc, s[18:19], v[2:3]
	v_add_co_u32_e64 v5, s[2:3], s2, v15
	v_addc_co_u32_e64 v6, s[2:3], v16, v4, s[2:3]
	s_and_saveexec_b64 s[2:3], vcc
	s_cbranch_execz .LBB14_7
; %bb.6:
	v_mul_lo_u32 v7, s11, v2
	v_mul_lo_u32 v8, s10, v3
	v_mad_u64_u32 v[3:4], s[12:13], s10, v2, 0
	v_add3_u32 v4, v4, v8, v7
	v_lshlrev_b64 v[3:4], 1, v[3:4]
	v_add_co_u32_e32 v3, vcc, v5, v3
	v_addc_co_u32_e32 v4, vcc, v6, v4, vcc
	global_load_ushort v3, v[3:4], off
	v_add_u32_e32 v4, v13, v14
	s_waitcnt vmcnt(0)
	ds_write_b16 v4, v3
.LBB14_7:
	s_or_b64 exec, exec, s[2:3]
	v_add_u32_e32 v3, 8, v2
	v_ashrrev_i32_e32 v4, 31, v3
	v_cmp_gt_i64_e32 vcc, s[18:19], v[3:4]
	s_and_saveexec_b64 s[2:3], vcc
	s_cbranch_execz .LBB14_9
; %bb.8:
	v_mul_lo_u32 v7, s11, v3
	v_mul_lo_u32 v8, s10, v4
	v_mad_u64_u32 v[3:4], s[12:13], s10, v3, 0
	v_add3_u32 v4, v4, v8, v7
	v_lshlrev_b64 v[3:4], 1, v[3:4]
	v_add_co_u32_e32 v3, vcc, v5, v3
	v_addc_co_u32_e32 v4, vcc, v6, v4, vcc
	global_load_ushort v3, v[3:4], off
	v_add_u32_e32 v4, v13, v14
	s_waitcnt vmcnt(0)
	ds_write_b16 v4, v3 offset:1056
.LBB14_9:
	s_or_b64 exec, exec, s[2:3]
	v_add_u32_e32 v3, 16, v2
	v_ashrrev_i32_e32 v4, 31, v3
	v_cmp_gt_i64_e32 vcc, s[18:19], v[3:4]
	s_and_saveexec_b64 s[2:3], vcc
	s_cbranch_execz .LBB14_11
; %bb.10:
	v_mul_lo_u32 v7, s11, v3
	v_mul_lo_u32 v8, s10, v4
	v_mad_u64_u32 v[3:4], s[12:13], s10, v3, 0
	v_add3_u32 v4, v4, v8, v7
	v_lshlrev_b64 v[3:4], 1, v[3:4]
	v_add_co_u32_e32 v3, vcc, v5, v3
	v_addc_co_u32_e32 v4, vcc, v6, v4, vcc
	global_load_ushort v3, v[3:4], off
	v_add_u32_e32 v4, v13, v14
	s_waitcnt vmcnt(0)
	ds_write_b16 v4, v3 offset:2112
.LBB14_11:
	s_or_b64 exec, exec, s[2:3]
	v_add_u32_e32 v3, 24, v2
	v_ashrrev_i32_e32 v4, 31, v3
	v_cmp_gt_i64_e32 vcc, s[18:19], v[3:4]
	s_and_b64 exec, exec, vcc
	s_cbranch_execz .LBB14_13
; %bb.12:
	v_mul_lo_u32 v7, s11, v3
	v_mul_lo_u32 v8, s10, v4
	v_mad_u64_u32 v[3:4], s[2:3], s10, v3, 0
	v_add3_u32 v4, v4, v8, v7
	v_lshlrev_b64 v[3:4], 1, v[3:4]
	v_add_co_u32_e32 v3, vcc, v5, v3
	v_addc_co_u32_e32 v4, vcc, v6, v4, vcc
	global_load_ushort v3, v[3:4], off
	v_add_u32_e32 v4, v13, v14
	s_waitcnt vmcnt(0)
	ds_write_b16 v4, v3 offset:3168
.LBB14_13:
	s_or_b64 exec, exec, s[4:5]
	v_add_u32_e32 v5, s16, v0
	v_ashrrev_i32_e32 v6, 31, v5
	v_cmp_le_i64_e32 vcc, s[18:19], v[5:6]
	v_cmp_gt_i64_e64 s[2:3], s[18:19], v[5:6]
	v_lshlrev_b64 v[5:6], 1, v[5:6]
	v_add_u32_e32 v4, s9, v1
	v_mov_b32_e32 v3, s15
	v_add_co_u32_e64 v17, s[4:5], s14, v5
	v_addc_co_u32_e64 v18, s[4:5], v3, v6, s[4:5]
	v_ashrrev_i32_e32 v5, 31, v4
	s_lshl_b64 s[6:7], s[6:7], 1
	v_cmp_gt_i64_e64 s[4:5], s[10:11], v[4:5]
	v_mul_u32_u24_e32 v0, 0x84, v0
	v_mov_b32_e32 v6, s7
	v_add_co_u32_e64 v3, s[6:7], s6, v17
	v_addc_co_u32_e64 v10, s[6:7], v18, v6, s[6:7]
	s_and_b64 s[4:5], s[4:5], s[2:3]
	v_lshl_add_u32 v12, v1, 2, v0
	s_waitcnt lgkmcnt(0)
	s_barrier
	s_and_saveexec_b64 s[6:7], s[4:5]
	s_cbranch_execz .LBB14_15
; %bb.14:
	v_mul_lo_u32 v6, s19, v4
	v_mul_lo_u32 v7, s18, v5
	v_mad_u64_u32 v[0:1], s[2:3], s18, v4, 0
	v_add3_u32 v1, v1, v7, v6
	ds_read_u16 v6, v12
	v_lshlrev_b64 v[0:1], 1, v[0:1]
	v_add_co_u32_e64 v0, s[2:3], v3, v0
	v_addc_co_u32_e64 v1, s[2:3], v10, v1, s[2:3]
	s_waitcnt lgkmcnt(0)
	global_store_short v[0:1], v6, off
.LBB14_15:
	s_or_b64 exec, exec, s[6:7]
	v_add_u32_e32 v0, 8, v4
	v_ashrrev_i32_e32 v1, 31, v0
	v_cmp_gt_i64_e64 s[2:3], s[10:11], v[0:1]
	s_xor_b64 s[14:15], vcc, -1
	s_and_b64 s[6:7], s[2:3], s[14:15]
	s_and_saveexec_b64 s[2:3], s[6:7]
	s_cbranch_execz .LBB14_17
; %bb.16:
	v_mul_lo_u32 v8, s19, v0
	v_mul_lo_u32 v9, s18, v1
	v_mad_u64_u32 v[6:7], s[12:13], s18, v0, 0
	v_add3_u32 v7, v7, v9, v8
	ds_read_u16 v8, v12 offset:32
	v_lshlrev_b64 v[6:7], 1, v[6:7]
	v_add_co_u32_e32 v6, vcc, v3, v6
	v_addc_co_u32_e32 v7, vcc, v10, v7, vcc
	s_waitcnt lgkmcnt(0)
	global_store_short v[6:7], v8, off
.LBB14_17:
	s_or_b64 exec, exec, s[2:3]
	v_add_u32_e32 v6, 16, v4
	v_ashrrev_i32_e32 v7, 31, v6
	v_cmp_gt_i64_e32 vcc, s[10:11], v[6:7]
	s_and_b64 s[12:13], vcc, s[14:15]
	s_and_saveexec_b64 s[2:3], s[12:13]
	s_cbranch_execz .LBB14_19
; %bb.18:
	v_mul_lo_u32 v11, s19, v6
	v_mul_lo_u32 v19, s18, v7
	v_mad_u64_u32 v[8:9], s[16:17], s18, v6, 0
	v_add3_u32 v9, v9, v19, v11
	ds_read_u16 v11, v12 offset:64
	v_lshlrev_b64 v[8:9], 1, v[8:9]
	v_add_co_u32_e32 v8, vcc, v3, v8
	v_addc_co_u32_e32 v9, vcc, v10, v9, vcc
	s_waitcnt lgkmcnt(0)
	global_store_short v[8:9], v11, off
.LBB14_19:
	s_or_b64 exec, exec, s[2:3]
	v_add_u32_e32 v8, 24, v4
	v_ashrrev_i32_e32 v9, 31, v8
	v_cmp_gt_i64_e32 vcc, s[10:11], v[8:9]
	s_and_b64 s[14:15], vcc, s[14:15]
	s_and_saveexec_b64 s[2:3], s[14:15]
	s_cbranch_execz .LBB14_21
; %bb.20:
	v_mul_lo_u32 v11, s19, v8
	v_mul_lo_u32 v21, s18, v9
	v_mad_u64_u32 v[19:20], s[16:17], s18, v8, 0
	v_add3_u32 v20, v20, v21, v11
	ds_read_u16 v11, v12 offset:96
	v_lshlrev_b64 v[19:20], 1, v[19:20]
	v_add_co_u32_e32 v19, vcc, v3, v19
	v_addc_co_u32_e32 v20, vcc, v10, v20, vcc
	s_waitcnt lgkmcnt(0)
	global_store_short v[19:20], v11, off
.LBB14_21:
	s_or_b64 exec, exec, s[2:3]
	s_mov_b32 s3, 0
	s_or_b32 s2, s8, 1
	v_mov_b32_e32 v11, s3
	v_mov_b32_e32 v10, s2
	v_cmp_le_u64_e32 vcc, s[22:23], v[10:11]
	s_cbranch_vccnz .LBB14_126
; %bb.22:
	s_mul_i32 s3, s21, s2
	s_mul_hi_u32 s9, s20, s2
	s_add_i32 s17, s9, s3
	s_mul_i32 s16, s20, s2
	s_and_saveexec_b64 s[24:25], s[0:1]
	s_cbranch_execz .LBB14_31
; %bb.23:
	s_lshl_b64 s[2:3], s[16:17], 1
	v_ashrrev_i32_e32 v3, 31, v2
	v_mov_b32_e32 v10, s3
	v_cmp_gt_i64_e32 vcc, s[18:19], v[2:3]
	v_add_co_u32_e64 v19, s[2:3], s2, v15
	v_addc_co_u32_e64 v20, s[2:3], v16, v10, s[2:3]
	s_and_saveexec_b64 s[2:3], vcc
	s_cbranch_execz .LBB14_25
; %bb.24:
	v_mul_lo_u32 v21, s11, v2
	v_mul_lo_u32 v3, s10, v3
	v_mad_u64_u32 v[10:11], s[26:27], s10, v2, 0
	v_add3_u32 v11, v11, v3, v21
	v_lshlrev_b64 v[10:11], 1, v[10:11]
	v_add_co_u32_e32 v10, vcc, v19, v10
	v_addc_co_u32_e32 v11, vcc, v20, v11, vcc
	global_load_ushort v3, v[10:11], off
	v_add_u32_e32 v10, v13, v14
	s_waitcnt vmcnt(0)
	ds_write_b16 v10, v3 offset:4224
.LBB14_25:
	s_or_b64 exec, exec, s[2:3]
	v_add_u32_e32 v10, 8, v2
	v_ashrrev_i32_e32 v11, 31, v10
	v_cmp_gt_i64_e32 vcc, s[18:19], v[10:11]
	s_and_saveexec_b64 s[2:3], vcc
	s_cbranch_execz .LBB14_27
; %bb.26:
	v_mul_lo_u32 v3, s11, v10
	v_mul_lo_u32 v21, s10, v11
	v_mad_u64_u32 v[10:11], s[26:27], s10, v10, 0
	v_add3_u32 v11, v11, v21, v3
	v_lshlrev_b64 v[10:11], 1, v[10:11]
	v_add_co_u32_e32 v10, vcc, v19, v10
	v_addc_co_u32_e32 v11, vcc, v20, v11, vcc
	global_load_ushort v3, v[10:11], off
	v_add_u32_e32 v10, v13, v14
	s_waitcnt vmcnt(0)
	ds_write_b16 v10, v3 offset:5280
.LBB14_27:
	s_or_b64 exec, exec, s[2:3]
	v_add_u32_e32 v10, 16, v2
	v_ashrrev_i32_e32 v11, 31, v10
	v_cmp_gt_i64_e32 vcc, s[18:19], v[10:11]
	s_and_saveexec_b64 s[2:3], vcc
	s_cbranch_execz .LBB14_29
; %bb.28:
	v_mul_lo_u32 v3, s11, v10
	v_mul_lo_u32 v21, s10, v11
	v_mad_u64_u32 v[10:11], s[26:27], s10, v10, 0
	v_add3_u32 v11, v11, v21, v3
	v_lshlrev_b64 v[10:11], 1, v[10:11]
	v_add_co_u32_e32 v10, vcc, v19, v10
	v_addc_co_u32_e32 v11, vcc, v20, v11, vcc
	global_load_ushort v3, v[10:11], off
	v_add_u32_e32 v10, v13, v14
	s_waitcnt vmcnt(0)
	ds_write_b16 v10, v3 offset:6336
.LBB14_29:
	s_or_b64 exec, exec, s[2:3]
	v_add_u32_e32 v10, 24, v2
	v_ashrrev_i32_e32 v11, 31, v10
	v_cmp_gt_i64_e32 vcc, s[18:19], v[10:11]
	s_and_b64 exec, exec, vcc
	s_cbranch_execz .LBB14_31
; %bb.30:
	v_mul_lo_u32 v3, s11, v10
	v_mul_lo_u32 v21, s10, v11
	v_mad_u64_u32 v[10:11], s[2:3], s10, v10, 0
	v_add3_u32 v11, v11, v21, v3
	v_lshlrev_b64 v[10:11], 1, v[10:11]
	v_add_co_u32_e32 v10, vcc, v19, v10
	v_addc_co_u32_e32 v11, vcc, v20, v11, vcc
	global_load_ushort v3, v[10:11], off
	v_add_u32_e32 v10, v13, v14
	s_waitcnt vmcnt(0)
	ds_write_b16 v10, v3 offset:7392
.LBB14_31:
	s_or_b64 exec, exec, s[24:25]
	s_lshl_b64 s[2:3], s[16:17], 1
	v_mov_b32_e32 v10, s3
	v_add_co_u32_e32 v3, vcc, s2, v17
	v_addc_co_u32_e32 v10, vcc, v18, v10, vcc
	s_waitcnt vmcnt(0) lgkmcnt(0)
	s_barrier
	s_and_saveexec_b64 s[2:3], s[4:5]
	s_cbranch_execnz .LBB14_128
; %bb.32:
	s_or_b64 exec, exec, s[2:3]
	s_and_saveexec_b64 s[2:3], s[6:7]
	s_cbranch_execnz .LBB14_129
.LBB14_33:
	s_or_b64 exec, exec, s[2:3]
	s_and_saveexec_b64 s[2:3], s[12:13]
	s_cbranch_execnz .LBB14_130
.LBB14_34:
	s_or_b64 exec, exec, s[2:3]
	s_and_saveexec_b64 s[2:3], s[14:15]
	s_cbranch_execz .LBB14_36
.LBB14_35:
	v_mul_lo_u32 v11, s19, v8
	v_mul_lo_u32 v21, s18, v9
	v_mad_u64_u32 v[19:20], s[16:17], s18, v8, 0
	v_add3_u32 v20, v20, v21, v11
	ds_read_u16 v11, v12 offset:4320
	v_lshlrev_b64 v[19:20], 1, v[19:20]
	v_add_co_u32_e32 v19, vcc, v3, v19
	v_addc_co_u32_e32 v20, vcc, v10, v20, vcc
	s_waitcnt lgkmcnt(0)
	global_store_short v[19:20], v11, off
.LBB14_36:
	s_or_b64 exec, exec, s[2:3]
	s_mov_b32 s3, 0
	s_or_b32 s2, s8, 2
	v_mov_b32_e32 v11, s3
	v_mov_b32_e32 v10, s2
	v_cmp_le_u64_e32 vcc, s[22:23], v[10:11]
	s_cbranch_vccnz .LBB14_126
; %bb.37:
	s_mul_i32 s3, s21, s2
	s_mul_hi_u32 s9, s20, s2
	s_add_i32 s17, s9, s3
	s_mul_i32 s16, s20, s2
	s_and_saveexec_b64 s[24:25], s[0:1]
	s_cbranch_execz .LBB14_46
; %bb.38:
	s_lshl_b64 s[2:3], s[16:17], 1
	v_ashrrev_i32_e32 v3, 31, v2
	v_mov_b32_e32 v10, s3
	v_cmp_gt_i64_e32 vcc, s[18:19], v[2:3]
	v_add_co_u32_e64 v19, s[2:3], s2, v15
	v_addc_co_u32_e64 v20, s[2:3], v16, v10, s[2:3]
	s_and_saveexec_b64 s[2:3], vcc
	s_cbranch_execz .LBB14_40
; %bb.39:
	v_mul_lo_u32 v21, s11, v2
	v_mul_lo_u32 v3, s10, v3
	v_mad_u64_u32 v[10:11], s[26:27], s10, v2, 0
	v_add3_u32 v11, v11, v3, v21
	v_lshlrev_b64 v[10:11], 1, v[10:11]
	v_add_co_u32_e32 v10, vcc, v19, v10
	v_addc_co_u32_e32 v11, vcc, v20, v11, vcc
	global_load_ushort v3, v[10:11], off
	v_add_u32_e32 v10, v13, v14
	s_waitcnt vmcnt(0)
	ds_write_b16 v10, v3
.LBB14_40:
	s_or_b64 exec, exec, s[2:3]
	v_add_u32_e32 v10, 8, v2
	v_ashrrev_i32_e32 v11, 31, v10
	v_cmp_gt_i64_e32 vcc, s[18:19], v[10:11]
	s_and_saveexec_b64 s[2:3], vcc
	s_cbranch_execz .LBB14_42
; %bb.41:
	v_mul_lo_u32 v3, s11, v10
	v_mul_lo_u32 v21, s10, v11
	v_mad_u64_u32 v[10:11], s[26:27], s10, v10, 0
	v_add3_u32 v11, v11, v21, v3
	v_lshlrev_b64 v[10:11], 1, v[10:11]
	v_add_co_u32_e32 v10, vcc, v19, v10
	v_addc_co_u32_e32 v11, vcc, v20, v11, vcc
	global_load_ushort v3, v[10:11], off
	v_add_u32_e32 v10, v13, v14
	s_waitcnt vmcnt(0)
	ds_write_b16 v10, v3 offset:1056
.LBB14_42:
	s_or_b64 exec, exec, s[2:3]
	v_add_u32_e32 v10, 16, v2
	v_ashrrev_i32_e32 v11, 31, v10
	v_cmp_gt_i64_e32 vcc, s[18:19], v[10:11]
	s_and_saveexec_b64 s[2:3], vcc
	s_cbranch_execz .LBB14_44
; %bb.43:
	v_mul_lo_u32 v3, s11, v10
	v_mul_lo_u32 v21, s10, v11
	v_mad_u64_u32 v[10:11], s[26:27], s10, v10, 0
	v_add3_u32 v11, v11, v21, v3
	v_lshlrev_b64 v[10:11], 1, v[10:11]
	v_add_co_u32_e32 v10, vcc, v19, v10
	v_addc_co_u32_e32 v11, vcc, v20, v11, vcc
	global_load_ushort v3, v[10:11], off
	v_add_u32_e32 v10, v13, v14
	s_waitcnt vmcnt(0)
	ds_write_b16 v10, v3 offset:2112
.LBB14_44:
	s_or_b64 exec, exec, s[2:3]
	v_add_u32_e32 v10, 24, v2
	v_ashrrev_i32_e32 v11, 31, v10
	v_cmp_gt_i64_e32 vcc, s[18:19], v[10:11]
	s_and_b64 exec, exec, vcc
	s_cbranch_execz .LBB14_46
; %bb.45:
	v_mul_lo_u32 v3, s11, v10
	v_mul_lo_u32 v21, s10, v11
	v_mad_u64_u32 v[10:11], s[2:3], s10, v10, 0
	v_add3_u32 v11, v11, v21, v3
	v_lshlrev_b64 v[10:11], 1, v[10:11]
	v_add_co_u32_e32 v10, vcc, v19, v10
	v_addc_co_u32_e32 v11, vcc, v20, v11, vcc
	global_load_ushort v3, v[10:11], off
	v_add_u32_e32 v10, v13, v14
	s_waitcnt vmcnt(0)
	ds_write_b16 v10, v3 offset:3168
.LBB14_46:
	s_or_b64 exec, exec, s[24:25]
	s_lshl_b64 s[2:3], s[16:17], 1
	v_mov_b32_e32 v10, s3
	v_add_co_u32_e32 v3, vcc, s2, v17
	v_addc_co_u32_e32 v10, vcc, v18, v10, vcc
	s_waitcnt vmcnt(0) lgkmcnt(0)
	s_barrier
	s_and_saveexec_b64 s[2:3], s[4:5]
	s_cbranch_execnz .LBB14_131
; %bb.47:
	s_or_b64 exec, exec, s[2:3]
	s_and_saveexec_b64 s[2:3], s[6:7]
	s_cbranch_execnz .LBB14_132
.LBB14_48:
	s_or_b64 exec, exec, s[2:3]
	s_and_saveexec_b64 s[2:3], s[12:13]
	s_cbranch_execnz .LBB14_133
.LBB14_49:
	s_or_b64 exec, exec, s[2:3]
	s_and_saveexec_b64 s[2:3], s[14:15]
	s_cbranch_execz .LBB14_51
.LBB14_50:
	v_mul_lo_u32 v11, s19, v8
	v_mul_lo_u32 v21, s18, v9
	v_mad_u64_u32 v[19:20], s[16:17], s18, v8, 0
	v_add3_u32 v20, v20, v21, v11
	ds_read_u16 v11, v12 offset:96
	v_lshlrev_b64 v[19:20], 1, v[19:20]
	v_add_co_u32_e32 v19, vcc, v3, v19
	v_addc_co_u32_e32 v20, vcc, v10, v20, vcc
	s_waitcnt lgkmcnt(0)
	global_store_short v[19:20], v11, off
.LBB14_51:
	s_or_b64 exec, exec, s[2:3]
	s_mov_b32 s3, 0
	s_or_b32 s2, s8, 3
	v_mov_b32_e32 v11, s3
	v_mov_b32_e32 v10, s2
	v_cmp_le_u64_e32 vcc, s[22:23], v[10:11]
	s_cbranch_vccnz .LBB14_126
; %bb.52:
	s_mul_i32 s3, s21, s2
	s_mul_hi_u32 s9, s20, s2
	s_add_i32 s17, s9, s3
	s_mul_i32 s16, s20, s2
	s_and_saveexec_b64 s[24:25], s[0:1]
	s_cbranch_execz .LBB14_61
; %bb.53:
	s_lshl_b64 s[2:3], s[16:17], 1
	v_ashrrev_i32_e32 v3, 31, v2
	v_mov_b32_e32 v10, s3
	v_cmp_gt_i64_e32 vcc, s[18:19], v[2:3]
	v_add_co_u32_e64 v19, s[2:3], s2, v15
	v_addc_co_u32_e64 v20, s[2:3], v16, v10, s[2:3]
	s_and_saveexec_b64 s[2:3], vcc
	s_cbranch_execz .LBB14_55
; %bb.54:
	v_mul_lo_u32 v21, s11, v2
	v_mul_lo_u32 v3, s10, v3
	v_mad_u64_u32 v[10:11], s[26:27], s10, v2, 0
	v_add3_u32 v11, v11, v3, v21
	v_lshlrev_b64 v[10:11], 1, v[10:11]
	v_add_co_u32_e32 v10, vcc, v19, v10
	v_addc_co_u32_e32 v11, vcc, v20, v11, vcc
	global_load_ushort v3, v[10:11], off
	v_add_u32_e32 v10, v13, v14
	s_waitcnt vmcnt(0)
	ds_write_b16 v10, v3 offset:4224
.LBB14_55:
	s_or_b64 exec, exec, s[2:3]
	v_add_u32_e32 v10, 8, v2
	v_ashrrev_i32_e32 v11, 31, v10
	v_cmp_gt_i64_e32 vcc, s[18:19], v[10:11]
	s_and_saveexec_b64 s[2:3], vcc
	s_cbranch_execz .LBB14_57
; %bb.56:
	v_mul_lo_u32 v3, s11, v10
	v_mul_lo_u32 v21, s10, v11
	v_mad_u64_u32 v[10:11], s[26:27], s10, v10, 0
	v_add3_u32 v11, v11, v21, v3
	v_lshlrev_b64 v[10:11], 1, v[10:11]
	v_add_co_u32_e32 v10, vcc, v19, v10
	v_addc_co_u32_e32 v11, vcc, v20, v11, vcc
	global_load_ushort v3, v[10:11], off
	v_add_u32_e32 v10, v13, v14
	s_waitcnt vmcnt(0)
	ds_write_b16 v10, v3 offset:5280
.LBB14_57:
	s_or_b64 exec, exec, s[2:3]
	v_add_u32_e32 v10, 16, v2
	v_ashrrev_i32_e32 v11, 31, v10
	v_cmp_gt_i64_e32 vcc, s[18:19], v[10:11]
	;; [unrolled: 19-line block ×3, first 2 shown]
	s_and_b64 exec, exec, vcc
	s_cbranch_execz .LBB14_61
; %bb.60:
	v_mul_lo_u32 v3, s11, v10
	v_mul_lo_u32 v21, s10, v11
	v_mad_u64_u32 v[10:11], s[2:3], s10, v10, 0
	v_add3_u32 v11, v11, v21, v3
	v_lshlrev_b64 v[10:11], 1, v[10:11]
	v_add_co_u32_e32 v10, vcc, v19, v10
	v_addc_co_u32_e32 v11, vcc, v20, v11, vcc
	global_load_ushort v3, v[10:11], off
	v_add_u32_e32 v10, v13, v14
	s_waitcnt vmcnt(0)
	ds_write_b16 v10, v3 offset:7392
.LBB14_61:
	s_or_b64 exec, exec, s[24:25]
	s_lshl_b64 s[2:3], s[16:17], 1
	v_mov_b32_e32 v10, s3
	v_add_co_u32_e32 v3, vcc, s2, v17
	v_addc_co_u32_e32 v10, vcc, v18, v10, vcc
	s_waitcnt vmcnt(0) lgkmcnt(0)
	s_barrier
	s_and_saveexec_b64 s[2:3], s[4:5]
	s_cbranch_execnz .LBB14_134
; %bb.62:
	s_or_b64 exec, exec, s[2:3]
	s_and_saveexec_b64 s[2:3], s[6:7]
	s_cbranch_execnz .LBB14_135
.LBB14_63:
	s_or_b64 exec, exec, s[2:3]
	s_and_saveexec_b64 s[2:3], s[12:13]
	s_cbranch_execnz .LBB14_136
.LBB14_64:
	s_or_b64 exec, exec, s[2:3]
	s_and_saveexec_b64 s[2:3], s[14:15]
	s_cbranch_execz .LBB14_66
.LBB14_65:
	v_mul_lo_u32 v11, s19, v8
	v_mul_lo_u32 v21, s18, v9
	v_mad_u64_u32 v[19:20], s[16:17], s18, v8, 0
	v_add3_u32 v20, v20, v21, v11
	ds_read_u16 v11, v12 offset:4320
	v_lshlrev_b64 v[19:20], 1, v[19:20]
	v_add_co_u32_e32 v19, vcc, v3, v19
	v_addc_co_u32_e32 v20, vcc, v10, v20, vcc
	s_waitcnt lgkmcnt(0)
	global_store_short v[19:20], v11, off
.LBB14_66:
	s_or_b64 exec, exec, s[2:3]
	s_mov_b32 s3, 0
	s_or_b32 s2, s8, 4
	v_mov_b32_e32 v11, s3
	v_mov_b32_e32 v10, s2
	v_cmp_le_u64_e32 vcc, s[22:23], v[10:11]
	s_cbranch_vccnz .LBB14_126
; %bb.67:
	s_mul_i32 s3, s21, s2
	s_mul_hi_u32 s9, s20, s2
	s_add_i32 s17, s9, s3
	s_mul_i32 s16, s20, s2
	s_and_saveexec_b64 s[24:25], s[0:1]
	s_cbranch_execz .LBB14_76
; %bb.68:
	s_lshl_b64 s[2:3], s[16:17], 1
	v_ashrrev_i32_e32 v3, 31, v2
	v_mov_b32_e32 v10, s3
	v_cmp_gt_i64_e32 vcc, s[18:19], v[2:3]
	v_add_co_u32_e64 v19, s[2:3], s2, v15
	v_addc_co_u32_e64 v20, s[2:3], v16, v10, s[2:3]
	s_and_saveexec_b64 s[2:3], vcc
	s_cbranch_execz .LBB14_70
; %bb.69:
	v_mul_lo_u32 v21, s11, v2
	v_mul_lo_u32 v3, s10, v3
	v_mad_u64_u32 v[10:11], s[26:27], s10, v2, 0
	v_add3_u32 v11, v11, v3, v21
	v_lshlrev_b64 v[10:11], 1, v[10:11]
	v_add_co_u32_e32 v10, vcc, v19, v10
	v_addc_co_u32_e32 v11, vcc, v20, v11, vcc
	global_load_ushort v3, v[10:11], off
	v_add_u32_e32 v10, v13, v14
	s_waitcnt vmcnt(0)
	ds_write_b16 v10, v3
.LBB14_70:
	s_or_b64 exec, exec, s[2:3]
	v_add_u32_e32 v10, 8, v2
	v_ashrrev_i32_e32 v11, 31, v10
	v_cmp_gt_i64_e32 vcc, s[18:19], v[10:11]
	s_and_saveexec_b64 s[2:3], vcc
	s_cbranch_execz .LBB14_72
; %bb.71:
	v_mul_lo_u32 v3, s11, v10
	v_mul_lo_u32 v21, s10, v11
	v_mad_u64_u32 v[10:11], s[26:27], s10, v10, 0
	v_add3_u32 v11, v11, v21, v3
	v_lshlrev_b64 v[10:11], 1, v[10:11]
	v_add_co_u32_e32 v10, vcc, v19, v10
	v_addc_co_u32_e32 v11, vcc, v20, v11, vcc
	global_load_ushort v3, v[10:11], off
	v_add_u32_e32 v10, v13, v14
	s_waitcnt vmcnt(0)
	ds_write_b16 v10, v3 offset:1056
.LBB14_72:
	s_or_b64 exec, exec, s[2:3]
	v_add_u32_e32 v10, 16, v2
	v_ashrrev_i32_e32 v11, 31, v10
	v_cmp_gt_i64_e32 vcc, s[18:19], v[10:11]
	s_and_saveexec_b64 s[2:3], vcc
	s_cbranch_execz .LBB14_74
; %bb.73:
	v_mul_lo_u32 v3, s11, v10
	v_mul_lo_u32 v21, s10, v11
	v_mad_u64_u32 v[10:11], s[26:27], s10, v10, 0
	v_add3_u32 v11, v11, v21, v3
	v_lshlrev_b64 v[10:11], 1, v[10:11]
	v_add_co_u32_e32 v10, vcc, v19, v10
	v_addc_co_u32_e32 v11, vcc, v20, v11, vcc
	global_load_ushort v3, v[10:11], off
	v_add_u32_e32 v10, v13, v14
	s_waitcnt vmcnt(0)
	ds_write_b16 v10, v3 offset:2112
.LBB14_74:
	s_or_b64 exec, exec, s[2:3]
	v_add_u32_e32 v10, 24, v2
	v_ashrrev_i32_e32 v11, 31, v10
	v_cmp_gt_i64_e32 vcc, s[18:19], v[10:11]
	s_and_b64 exec, exec, vcc
	s_cbranch_execz .LBB14_76
; %bb.75:
	v_mul_lo_u32 v3, s11, v10
	v_mul_lo_u32 v21, s10, v11
	v_mad_u64_u32 v[10:11], s[2:3], s10, v10, 0
	v_add3_u32 v11, v11, v21, v3
	v_lshlrev_b64 v[10:11], 1, v[10:11]
	v_add_co_u32_e32 v10, vcc, v19, v10
	v_addc_co_u32_e32 v11, vcc, v20, v11, vcc
	global_load_ushort v3, v[10:11], off
	v_add_u32_e32 v10, v13, v14
	s_waitcnt vmcnt(0)
	ds_write_b16 v10, v3 offset:3168
.LBB14_76:
	s_or_b64 exec, exec, s[24:25]
	s_lshl_b64 s[2:3], s[16:17], 1
	v_mov_b32_e32 v10, s3
	v_add_co_u32_e32 v3, vcc, s2, v17
	v_addc_co_u32_e32 v10, vcc, v18, v10, vcc
	s_waitcnt vmcnt(0) lgkmcnt(0)
	s_barrier
	s_and_saveexec_b64 s[2:3], s[4:5]
	s_cbranch_execnz .LBB14_137
; %bb.77:
	s_or_b64 exec, exec, s[2:3]
	s_and_saveexec_b64 s[2:3], s[6:7]
	s_cbranch_execnz .LBB14_138
.LBB14_78:
	s_or_b64 exec, exec, s[2:3]
	s_and_saveexec_b64 s[2:3], s[12:13]
	s_cbranch_execnz .LBB14_139
.LBB14_79:
	s_or_b64 exec, exec, s[2:3]
	s_and_saveexec_b64 s[2:3], s[14:15]
	s_cbranch_execz .LBB14_81
.LBB14_80:
	v_mul_lo_u32 v11, s19, v8
	v_mul_lo_u32 v21, s18, v9
	v_mad_u64_u32 v[19:20], s[16:17], s18, v8, 0
	v_add3_u32 v20, v20, v21, v11
	ds_read_u16 v11, v12 offset:96
	v_lshlrev_b64 v[19:20], 1, v[19:20]
	v_add_co_u32_e32 v19, vcc, v3, v19
	v_addc_co_u32_e32 v20, vcc, v10, v20, vcc
	s_waitcnt lgkmcnt(0)
	global_store_short v[19:20], v11, off
.LBB14_81:
	s_or_b64 exec, exec, s[2:3]
	s_mov_b32 s3, 0
	s_or_b32 s2, s8, 5
	v_mov_b32_e32 v11, s3
	v_mov_b32_e32 v10, s2
	v_cmp_le_u64_e32 vcc, s[22:23], v[10:11]
	s_cbranch_vccnz .LBB14_126
; %bb.82:
	s_mul_i32 s3, s21, s2
	s_mul_hi_u32 s9, s20, s2
	s_add_i32 s17, s9, s3
	s_mul_i32 s16, s20, s2
	s_and_saveexec_b64 s[24:25], s[0:1]
	s_cbranch_execz .LBB14_91
; %bb.83:
	s_lshl_b64 s[2:3], s[16:17], 1
	v_ashrrev_i32_e32 v3, 31, v2
	v_mov_b32_e32 v10, s3
	v_cmp_gt_i64_e32 vcc, s[18:19], v[2:3]
	v_add_co_u32_e64 v19, s[2:3], s2, v15
	v_addc_co_u32_e64 v20, s[2:3], v16, v10, s[2:3]
	s_and_saveexec_b64 s[2:3], vcc
	s_cbranch_execz .LBB14_85
; %bb.84:
	v_mul_lo_u32 v21, s11, v2
	v_mul_lo_u32 v3, s10, v3
	v_mad_u64_u32 v[10:11], s[26:27], s10, v2, 0
	v_add3_u32 v11, v11, v3, v21
	v_lshlrev_b64 v[10:11], 1, v[10:11]
	v_add_co_u32_e32 v10, vcc, v19, v10
	v_addc_co_u32_e32 v11, vcc, v20, v11, vcc
	global_load_ushort v3, v[10:11], off
	v_add_u32_e32 v10, v13, v14
	s_waitcnt vmcnt(0)
	ds_write_b16 v10, v3 offset:4224
.LBB14_85:
	s_or_b64 exec, exec, s[2:3]
	v_add_u32_e32 v10, 8, v2
	v_ashrrev_i32_e32 v11, 31, v10
	v_cmp_gt_i64_e32 vcc, s[18:19], v[10:11]
	s_and_saveexec_b64 s[2:3], vcc
	s_cbranch_execz .LBB14_87
; %bb.86:
	v_mul_lo_u32 v3, s11, v10
	v_mul_lo_u32 v21, s10, v11
	v_mad_u64_u32 v[10:11], s[26:27], s10, v10, 0
	v_add3_u32 v11, v11, v21, v3
	v_lshlrev_b64 v[10:11], 1, v[10:11]
	v_add_co_u32_e32 v10, vcc, v19, v10
	v_addc_co_u32_e32 v11, vcc, v20, v11, vcc
	global_load_ushort v3, v[10:11], off
	v_add_u32_e32 v10, v13, v14
	s_waitcnt vmcnt(0)
	ds_write_b16 v10, v3 offset:5280
.LBB14_87:
	s_or_b64 exec, exec, s[2:3]
	v_add_u32_e32 v10, 16, v2
	v_ashrrev_i32_e32 v11, 31, v10
	v_cmp_gt_i64_e32 vcc, s[18:19], v[10:11]
	;; [unrolled: 19-line block ×3, first 2 shown]
	s_and_b64 exec, exec, vcc
	s_cbranch_execz .LBB14_91
; %bb.90:
	v_mul_lo_u32 v3, s11, v10
	v_mul_lo_u32 v21, s10, v11
	v_mad_u64_u32 v[10:11], s[2:3], s10, v10, 0
	v_add3_u32 v11, v11, v21, v3
	v_lshlrev_b64 v[10:11], 1, v[10:11]
	v_add_co_u32_e32 v10, vcc, v19, v10
	v_addc_co_u32_e32 v11, vcc, v20, v11, vcc
	global_load_ushort v3, v[10:11], off
	v_add_u32_e32 v10, v13, v14
	s_waitcnt vmcnt(0)
	ds_write_b16 v10, v3 offset:7392
.LBB14_91:
	s_or_b64 exec, exec, s[24:25]
	s_lshl_b64 s[2:3], s[16:17], 1
	v_mov_b32_e32 v10, s3
	v_add_co_u32_e32 v3, vcc, s2, v17
	v_addc_co_u32_e32 v10, vcc, v18, v10, vcc
	s_waitcnt vmcnt(0) lgkmcnt(0)
	s_barrier
	s_and_saveexec_b64 s[2:3], s[4:5]
	s_cbranch_execnz .LBB14_140
; %bb.92:
	s_or_b64 exec, exec, s[2:3]
	s_and_saveexec_b64 s[2:3], s[6:7]
	s_cbranch_execnz .LBB14_141
.LBB14_93:
	s_or_b64 exec, exec, s[2:3]
	s_and_saveexec_b64 s[2:3], s[12:13]
	s_cbranch_execnz .LBB14_142
.LBB14_94:
	s_or_b64 exec, exec, s[2:3]
	s_and_saveexec_b64 s[2:3], s[14:15]
	s_cbranch_execz .LBB14_96
.LBB14_95:
	v_mul_lo_u32 v11, s19, v8
	v_mul_lo_u32 v21, s18, v9
	v_mad_u64_u32 v[19:20], s[16:17], s18, v8, 0
	v_add3_u32 v20, v20, v21, v11
	ds_read_u16 v11, v12 offset:4320
	v_lshlrev_b64 v[19:20], 1, v[19:20]
	v_add_co_u32_e32 v19, vcc, v3, v19
	v_addc_co_u32_e32 v20, vcc, v10, v20, vcc
	s_waitcnt lgkmcnt(0)
	global_store_short v[19:20], v11, off
.LBB14_96:
	s_or_b64 exec, exec, s[2:3]
	s_mov_b32 s3, 0
	s_or_b32 s2, s8, 6
	v_mov_b32_e32 v11, s3
	v_mov_b32_e32 v10, s2
	v_cmp_le_u64_e32 vcc, s[22:23], v[10:11]
	s_cbranch_vccnz .LBB14_126
; %bb.97:
	s_mul_i32 s3, s21, s2
	s_mul_hi_u32 s9, s20, s2
	s_add_i32 s17, s9, s3
	s_mul_i32 s16, s20, s2
	s_and_saveexec_b64 s[24:25], s[0:1]
	s_cbranch_execz .LBB14_106
; %bb.98:
	s_lshl_b64 s[2:3], s[16:17], 1
	v_ashrrev_i32_e32 v3, 31, v2
	v_mov_b32_e32 v10, s3
	v_cmp_gt_i64_e32 vcc, s[18:19], v[2:3]
	v_add_co_u32_e64 v19, s[2:3], s2, v15
	v_addc_co_u32_e64 v20, s[2:3], v16, v10, s[2:3]
	s_and_saveexec_b64 s[2:3], vcc
	s_cbranch_execz .LBB14_100
; %bb.99:
	v_mul_lo_u32 v21, s11, v2
	v_mul_lo_u32 v3, s10, v3
	v_mad_u64_u32 v[10:11], s[26:27], s10, v2, 0
	v_add3_u32 v11, v11, v3, v21
	v_lshlrev_b64 v[10:11], 1, v[10:11]
	v_add_co_u32_e32 v10, vcc, v19, v10
	v_addc_co_u32_e32 v11, vcc, v20, v11, vcc
	global_load_ushort v3, v[10:11], off
	v_add_u32_e32 v10, v13, v14
	s_waitcnt vmcnt(0)
	ds_write_b16 v10, v3
.LBB14_100:
	s_or_b64 exec, exec, s[2:3]
	v_add_u32_e32 v10, 8, v2
	v_ashrrev_i32_e32 v11, 31, v10
	v_cmp_gt_i64_e32 vcc, s[18:19], v[10:11]
	s_and_saveexec_b64 s[2:3], vcc
	s_cbranch_execz .LBB14_102
; %bb.101:
	v_mul_lo_u32 v3, s11, v10
	v_mul_lo_u32 v21, s10, v11
	v_mad_u64_u32 v[10:11], s[26:27], s10, v10, 0
	v_add3_u32 v11, v11, v21, v3
	v_lshlrev_b64 v[10:11], 1, v[10:11]
	v_add_co_u32_e32 v10, vcc, v19, v10
	v_addc_co_u32_e32 v11, vcc, v20, v11, vcc
	global_load_ushort v3, v[10:11], off
	v_add_u32_e32 v10, v13, v14
	s_waitcnt vmcnt(0)
	ds_write_b16 v10, v3 offset:1056
.LBB14_102:
	s_or_b64 exec, exec, s[2:3]
	v_add_u32_e32 v10, 16, v2
	v_ashrrev_i32_e32 v11, 31, v10
	v_cmp_gt_i64_e32 vcc, s[18:19], v[10:11]
	s_and_saveexec_b64 s[2:3], vcc
	s_cbranch_execz .LBB14_104
; %bb.103:
	v_mul_lo_u32 v3, s11, v10
	v_mul_lo_u32 v21, s10, v11
	v_mad_u64_u32 v[10:11], s[26:27], s10, v10, 0
	v_add3_u32 v11, v11, v21, v3
	v_lshlrev_b64 v[10:11], 1, v[10:11]
	v_add_co_u32_e32 v10, vcc, v19, v10
	v_addc_co_u32_e32 v11, vcc, v20, v11, vcc
	global_load_ushort v3, v[10:11], off
	v_add_u32_e32 v10, v13, v14
	s_waitcnt vmcnt(0)
	ds_write_b16 v10, v3 offset:2112
.LBB14_104:
	s_or_b64 exec, exec, s[2:3]
	v_add_u32_e32 v10, 24, v2
	v_ashrrev_i32_e32 v11, 31, v10
	v_cmp_gt_i64_e32 vcc, s[18:19], v[10:11]
	s_and_b64 exec, exec, vcc
	s_cbranch_execz .LBB14_106
; %bb.105:
	v_mul_lo_u32 v3, s11, v10
	v_mul_lo_u32 v21, s10, v11
	v_mad_u64_u32 v[10:11], s[2:3], s10, v10, 0
	v_add3_u32 v11, v11, v21, v3
	v_lshlrev_b64 v[10:11], 1, v[10:11]
	v_add_co_u32_e32 v10, vcc, v19, v10
	v_addc_co_u32_e32 v11, vcc, v20, v11, vcc
	global_load_ushort v3, v[10:11], off
	v_add_u32_e32 v10, v13, v14
	s_waitcnt vmcnt(0)
	ds_write_b16 v10, v3 offset:3168
.LBB14_106:
	s_or_b64 exec, exec, s[24:25]
	s_lshl_b64 s[2:3], s[16:17], 1
	v_mov_b32_e32 v10, s3
	v_add_co_u32_e32 v3, vcc, s2, v17
	v_addc_co_u32_e32 v10, vcc, v18, v10, vcc
	s_waitcnt vmcnt(0) lgkmcnt(0)
	s_barrier
	s_and_saveexec_b64 s[2:3], s[4:5]
	s_cbranch_execnz .LBB14_143
; %bb.107:
	s_or_b64 exec, exec, s[2:3]
	s_and_saveexec_b64 s[2:3], s[6:7]
	s_cbranch_execnz .LBB14_144
.LBB14_108:
	s_or_b64 exec, exec, s[2:3]
	s_and_saveexec_b64 s[2:3], s[12:13]
	s_cbranch_execnz .LBB14_145
.LBB14_109:
	s_or_b64 exec, exec, s[2:3]
	s_and_saveexec_b64 s[2:3], s[14:15]
	s_cbranch_execz .LBB14_111
.LBB14_110:
	v_mul_lo_u32 v11, s19, v8
	v_mul_lo_u32 v21, s18, v9
	v_mad_u64_u32 v[19:20], s[16:17], s18, v8, 0
	v_add3_u32 v20, v20, v21, v11
	ds_read_u16 v11, v12 offset:96
	v_lshlrev_b64 v[19:20], 1, v[19:20]
	v_add_co_u32_e32 v19, vcc, v3, v19
	v_addc_co_u32_e32 v20, vcc, v10, v20, vcc
	s_waitcnt lgkmcnt(0)
	global_store_short v[19:20], v11, off
.LBB14_111:
	s_or_b64 exec, exec, s[2:3]
	s_mov_b32 s3, 0
	s_or_b32 s2, s8, 7
	v_mov_b32_e32 v11, s3
	v_mov_b32_e32 v10, s2
	v_cmp_le_u64_e32 vcc, s[22:23], v[10:11]
	s_cbranch_vccnz .LBB14_126
; %bb.112:
	s_mul_i32 s3, s21, s2
	s_mul_hi_u32 s8, s20, s2
	s_add_i32 s3, s8, s3
	s_mul_i32 s2, s20, s2
	s_and_saveexec_b64 s[8:9], s[0:1]
	s_cbranch_execz .LBB14_121
; %bb.113:
	s_lshl_b64 s[0:1], s[2:3], 1
	v_mov_b32_e32 v3, s1
	v_add_co_u32_e32 v15, vcc, s0, v15
	v_addc_co_u32_e32 v16, vcc, v16, v3, vcc
	v_ashrrev_i32_e32 v3, 31, v2
	v_cmp_gt_i64_e32 vcc, s[18:19], v[2:3]
	v_add_u32_e32 v13, v13, v14
	s_and_saveexec_b64 s[0:1], vcc
	s_cbranch_execz .LBB14_115
; %bb.114:
	v_mul_lo_u32 v14, s11, v2
	v_mul_lo_u32 v3, s10, v3
	v_mad_u64_u32 v[10:11], s[16:17], s10, v2, 0
	v_add3_u32 v11, v11, v3, v14
	v_lshlrev_b64 v[10:11], 1, v[10:11]
	v_add_co_u32_e32 v10, vcc, v15, v10
	v_addc_co_u32_e32 v11, vcc, v16, v11, vcc
	global_load_ushort v3, v[10:11], off
	s_waitcnt vmcnt(0)
	ds_write_b16 v13, v3 offset:4224
.LBB14_115:
	s_or_b64 exec, exec, s[0:1]
	v_add_u32_e32 v10, 8, v2
	v_ashrrev_i32_e32 v11, 31, v10
	v_cmp_gt_i64_e32 vcc, s[18:19], v[10:11]
	s_and_saveexec_b64 s[0:1], vcc
	s_cbranch_execz .LBB14_117
; %bb.116:
	v_mul_lo_u32 v3, s11, v10
	v_mul_lo_u32 v14, s10, v11
	v_mad_u64_u32 v[10:11], s[16:17], s10, v10, 0
	v_add3_u32 v11, v11, v14, v3
	v_lshlrev_b64 v[10:11], 1, v[10:11]
	v_add_co_u32_e32 v10, vcc, v15, v10
	v_addc_co_u32_e32 v11, vcc, v16, v11, vcc
	global_load_ushort v3, v[10:11], off
	s_waitcnt vmcnt(0)
	ds_write_b16 v13, v3 offset:5280
.LBB14_117:
	s_or_b64 exec, exec, s[0:1]
	v_add_u32_e32 v10, 16, v2
	v_ashrrev_i32_e32 v11, 31, v10
	v_cmp_gt_i64_e32 vcc, s[18:19], v[10:11]
	;; [unrolled: 18-line block ×3, first 2 shown]
	s_and_b64 exec, exec, vcc
	s_cbranch_execz .LBB14_121
; %bb.120:
	v_mul_lo_u32 v10, s11, v2
	v_mul_lo_u32 v11, s10, v3
	v_mad_u64_u32 v[2:3], s[0:1], s10, v2, 0
	v_add3_u32 v3, v3, v11, v10
	v_lshlrev_b64 v[2:3], 1, v[2:3]
	v_add_co_u32_e32 v2, vcc, v15, v2
	v_addc_co_u32_e32 v3, vcc, v16, v3, vcc
	global_load_ushort v2, v[2:3], off
	s_waitcnt vmcnt(0)
	ds_write_b16 v13, v2 offset:7392
.LBB14_121:
	s_or_b64 exec, exec, s[8:9]
	s_lshl_b64 s[0:1], s[2:3], 1
	v_mov_b32_e32 v3, s1
	v_add_co_u32_e32 v2, vcc, s0, v17
	v_addc_co_u32_e32 v3, vcc, v18, v3, vcc
	s_waitcnt vmcnt(0) lgkmcnt(0)
	s_barrier
	s_and_saveexec_b64 s[0:1], s[4:5]
	s_cbranch_execnz .LBB14_146
; %bb.122:
	s_or_b64 exec, exec, s[0:1]
	s_and_saveexec_b64 s[0:1], s[6:7]
	s_cbranch_execnz .LBB14_147
.LBB14_123:
	s_or_b64 exec, exec, s[0:1]
	s_and_saveexec_b64 s[0:1], s[12:13]
	s_cbranch_execnz .LBB14_148
.LBB14_124:
	s_or_b64 exec, exec, s[0:1]
	s_and_saveexec_b64 s[0:1], s[14:15]
	s_cbranch_execz .LBB14_126
.LBB14_125:
	v_mul_lo_u32 v4, s19, v8
	v_mul_lo_u32 v5, s18, v9
	v_mad_u64_u32 v[0:1], s[0:1], s18, v8, 0
	v_add3_u32 v1, v1, v5, v4
	ds_read_u16 v4, v12 offset:4320
	v_lshlrev_b64 v[0:1], 1, v[0:1]
	v_add_co_u32_e32 v0, vcc, v2, v0
	v_addc_co_u32_e32 v1, vcc, v3, v1, vcc
	s_waitcnt lgkmcnt(0)
	global_store_short v[0:1], v4, off
.LBB14_126:
	s_endpgm
.LBB14_127:
                                        ; implicit-def: $sgpr22_sgpr23
	s_branch .LBB14_2
.LBB14_128:
	v_mul_lo_u32 v11, s19, v4
	v_mul_lo_u32 v21, s18, v5
	v_mad_u64_u32 v[19:20], s[16:17], s18, v4, 0
	v_add3_u32 v20, v20, v21, v11
	ds_read_u16 v11, v12 offset:4224
	v_lshlrev_b64 v[19:20], 1, v[19:20]
	v_add_co_u32_e32 v19, vcc, v3, v19
	v_addc_co_u32_e32 v20, vcc, v10, v20, vcc
	s_waitcnt lgkmcnt(0)
	global_store_short v[19:20], v11, off
	s_or_b64 exec, exec, s[2:3]
	s_and_saveexec_b64 s[2:3], s[6:7]
	s_cbranch_execz .LBB14_33
.LBB14_129:
	v_mul_lo_u32 v11, s19, v0
	v_mul_lo_u32 v21, s18, v1
	v_mad_u64_u32 v[19:20], s[16:17], s18, v0, 0
	v_add3_u32 v20, v20, v21, v11
	ds_read_u16 v11, v12 offset:4256
	v_lshlrev_b64 v[19:20], 1, v[19:20]
	v_add_co_u32_e32 v19, vcc, v3, v19
	v_addc_co_u32_e32 v20, vcc, v10, v20, vcc
	s_waitcnt lgkmcnt(0)
	global_store_short v[19:20], v11, off
	s_or_b64 exec, exec, s[2:3]
	s_and_saveexec_b64 s[2:3], s[12:13]
	s_cbranch_execz .LBB14_34
.LBB14_130:
	v_mul_lo_u32 v11, s19, v6
	v_mul_lo_u32 v21, s18, v7
	v_mad_u64_u32 v[19:20], s[16:17], s18, v6, 0
	v_add3_u32 v20, v20, v21, v11
	ds_read_u16 v11, v12 offset:4288
	v_lshlrev_b64 v[19:20], 1, v[19:20]
	v_add_co_u32_e32 v19, vcc, v3, v19
	v_addc_co_u32_e32 v20, vcc, v10, v20, vcc
	s_waitcnt lgkmcnt(0)
	global_store_short v[19:20], v11, off
	s_or_b64 exec, exec, s[2:3]
	s_and_saveexec_b64 s[2:3], s[14:15]
	s_cbranch_execnz .LBB14_35
	s_branch .LBB14_36
.LBB14_131:
	v_mul_lo_u32 v11, s19, v4
	v_mul_lo_u32 v21, s18, v5
	v_mad_u64_u32 v[19:20], s[16:17], s18, v4, 0
	v_add3_u32 v20, v20, v21, v11
	ds_read_u16 v11, v12
	v_lshlrev_b64 v[19:20], 1, v[19:20]
	v_add_co_u32_e32 v19, vcc, v3, v19
	v_addc_co_u32_e32 v20, vcc, v10, v20, vcc
	s_waitcnt lgkmcnt(0)
	global_store_short v[19:20], v11, off
	s_or_b64 exec, exec, s[2:3]
	s_and_saveexec_b64 s[2:3], s[6:7]
	s_cbranch_execz .LBB14_48
.LBB14_132:
	v_mul_lo_u32 v11, s19, v0
	v_mul_lo_u32 v21, s18, v1
	v_mad_u64_u32 v[19:20], s[16:17], s18, v0, 0
	v_add3_u32 v20, v20, v21, v11
	ds_read_u16 v11, v12 offset:32
	v_lshlrev_b64 v[19:20], 1, v[19:20]
	v_add_co_u32_e32 v19, vcc, v3, v19
	v_addc_co_u32_e32 v20, vcc, v10, v20, vcc
	s_waitcnt lgkmcnt(0)
	global_store_short v[19:20], v11, off
	s_or_b64 exec, exec, s[2:3]
	s_and_saveexec_b64 s[2:3], s[12:13]
	s_cbranch_execz .LBB14_49
.LBB14_133:
	v_mul_lo_u32 v11, s19, v6
	v_mul_lo_u32 v21, s18, v7
	v_mad_u64_u32 v[19:20], s[16:17], s18, v6, 0
	v_add3_u32 v20, v20, v21, v11
	ds_read_u16 v11, v12 offset:64
	v_lshlrev_b64 v[19:20], 1, v[19:20]
	v_add_co_u32_e32 v19, vcc, v3, v19
	v_addc_co_u32_e32 v20, vcc, v10, v20, vcc
	s_waitcnt lgkmcnt(0)
	global_store_short v[19:20], v11, off
	s_or_b64 exec, exec, s[2:3]
	s_and_saveexec_b64 s[2:3], s[14:15]
	s_cbranch_execnz .LBB14_50
	s_branch .LBB14_51
.LBB14_134:
	v_mul_lo_u32 v11, s19, v4
	v_mul_lo_u32 v21, s18, v5
	v_mad_u64_u32 v[19:20], s[16:17], s18, v4, 0
	v_add3_u32 v20, v20, v21, v11
	ds_read_u16 v11, v12 offset:4224
	v_lshlrev_b64 v[19:20], 1, v[19:20]
	v_add_co_u32_e32 v19, vcc, v3, v19
	v_addc_co_u32_e32 v20, vcc, v10, v20, vcc
	s_waitcnt lgkmcnt(0)
	global_store_short v[19:20], v11, off
	s_or_b64 exec, exec, s[2:3]
	s_and_saveexec_b64 s[2:3], s[6:7]
	s_cbranch_execz .LBB14_63
.LBB14_135:
	v_mul_lo_u32 v11, s19, v0
	v_mul_lo_u32 v21, s18, v1
	v_mad_u64_u32 v[19:20], s[16:17], s18, v0, 0
	v_add3_u32 v20, v20, v21, v11
	ds_read_u16 v11, v12 offset:4256
	v_lshlrev_b64 v[19:20], 1, v[19:20]
	v_add_co_u32_e32 v19, vcc, v3, v19
	v_addc_co_u32_e32 v20, vcc, v10, v20, vcc
	s_waitcnt lgkmcnt(0)
	global_store_short v[19:20], v11, off
	s_or_b64 exec, exec, s[2:3]
	s_and_saveexec_b64 s[2:3], s[12:13]
	s_cbranch_execz .LBB14_64
.LBB14_136:
	v_mul_lo_u32 v11, s19, v6
	v_mul_lo_u32 v21, s18, v7
	v_mad_u64_u32 v[19:20], s[16:17], s18, v6, 0
	v_add3_u32 v20, v20, v21, v11
	ds_read_u16 v11, v12 offset:4288
	v_lshlrev_b64 v[19:20], 1, v[19:20]
	v_add_co_u32_e32 v19, vcc, v3, v19
	v_addc_co_u32_e32 v20, vcc, v10, v20, vcc
	s_waitcnt lgkmcnt(0)
	global_store_short v[19:20], v11, off
	s_or_b64 exec, exec, s[2:3]
	s_and_saveexec_b64 s[2:3], s[14:15]
	s_cbranch_execnz .LBB14_65
	s_branch .LBB14_66
.LBB14_137:
	v_mul_lo_u32 v11, s19, v4
	v_mul_lo_u32 v21, s18, v5
	v_mad_u64_u32 v[19:20], s[16:17], s18, v4, 0
	v_add3_u32 v20, v20, v21, v11
	ds_read_u16 v11, v12
	v_lshlrev_b64 v[19:20], 1, v[19:20]
	v_add_co_u32_e32 v19, vcc, v3, v19
	v_addc_co_u32_e32 v20, vcc, v10, v20, vcc
	s_waitcnt lgkmcnt(0)
	global_store_short v[19:20], v11, off
	s_or_b64 exec, exec, s[2:3]
	s_and_saveexec_b64 s[2:3], s[6:7]
	s_cbranch_execz .LBB14_78
.LBB14_138:
	v_mul_lo_u32 v11, s19, v0
	v_mul_lo_u32 v21, s18, v1
	v_mad_u64_u32 v[19:20], s[16:17], s18, v0, 0
	v_add3_u32 v20, v20, v21, v11
	ds_read_u16 v11, v12 offset:32
	v_lshlrev_b64 v[19:20], 1, v[19:20]
	v_add_co_u32_e32 v19, vcc, v3, v19
	v_addc_co_u32_e32 v20, vcc, v10, v20, vcc
	s_waitcnt lgkmcnt(0)
	global_store_short v[19:20], v11, off
	s_or_b64 exec, exec, s[2:3]
	s_and_saveexec_b64 s[2:3], s[12:13]
	s_cbranch_execz .LBB14_79
.LBB14_139:
	v_mul_lo_u32 v11, s19, v6
	v_mul_lo_u32 v21, s18, v7
	v_mad_u64_u32 v[19:20], s[16:17], s18, v6, 0
	v_add3_u32 v20, v20, v21, v11
	ds_read_u16 v11, v12 offset:64
	v_lshlrev_b64 v[19:20], 1, v[19:20]
	v_add_co_u32_e32 v19, vcc, v3, v19
	v_addc_co_u32_e32 v20, vcc, v10, v20, vcc
	s_waitcnt lgkmcnt(0)
	global_store_short v[19:20], v11, off
	s_or_b64 exec, exec, s[2:3]
	s_and_saveexec_b64 s[2:3], s[14:15]
	s_cbranch_execnz .LBB14_80
	s_branch .LBB14_81
.LBB14_140:
	v_mul_lo_u32 v11, s19, v4
	v_mul_lo_u32 v21, s18, v5
	v_mad_u64_u32 v[19:20], s[16:17], s18, v4, 0
	v_add3_u32 v20, v20, v21, v11
	ds_read_u16 v11, v12 offset:4224
	v_lshlrev_b64 v[19:20], 1, v[19:20]
	v_add_co_u32_e32 v19, vcc, v3, v19
	v_addc_co_u32_e32 v20, vcc, v10, v20, vcc
	s_waitcnt lgkmcnt(0)
	global_store_short v[19:20], v11, off
	s_or_b64 exec, exec, s[2:3]
	s_and_saveexec_b64 s[2:3], s[6:7]
	s_cbranch_execz .LBB14_93
.LBB14_141:
	v_mul_lo_u32 v11, s19, v0
	v_mul_lo_u32 v21, s18, v1
	v_mad_u64_u32 v[19:20], s[16:17], s18, v0, 0
	v_add3_u32 v20, v20, v21, v11
	ds_read_u16 v11, v12 offset:4256
	v_lshlrev_b64 v[19:20], 1, v[19:20]
	v_add_co_u32_e32 v19, vcc, v3, v19
	v_addc_co_u32_e32 v20, vcc, v10, v20, vcc
	s_waitcnt lgkmcnt(0)
	global_store_short v[19:20], v11, off
	s_or_b64 exec, exec, s[2:3]
	s_and_saveexec_b64 s[2:3], s[12:13]
	s_cbranch_execz .LBB14_94
.LBB14_142:
	v_mul_lo_u32 v11, s19, v6
	v_mul_lo_u32 v21, s18, v7
	v_mad_u64_u32 v[19:20], s[16:17], s18, v6, 0
	v_add3_u32 v20, v20, v21, v11
	ds_read_u16 v11, v12 offset:4288
	v_lshlrev_b64 v[19:20], 1, v[19:20]
	v_add_co_u32_e32 v19, vcc, v3, v19
	v_addc_co_u32_e32 v20, vcc, v10, v20, vcc
	s_waitcnt lgkmcnt(0)
	global_store_short v[19:20], v11, off
	s_or_b64 exec, exec, s[2:3]
	s_and_saveexec_b64 s[2:3], s[14:15]
	s_cbranch_execnz .LBB14_95
	s_branch .LBB14_96
.LBB14_143:
	v_mul_lo_u32 v11, s19, v4
	v_mul_lo_u32 v21, s18, v5
	v_mad_u64_u32 v[19:20], s[16:17], s18, v4, 0
	v_add3_u32 v20, v20, v21, v11
	ds_read_u16 v11, v12
	v_lshlrev_b64 v[19:20], 1, v[19:20]
	v_add_co_u32_e32 v19, vcc, v3, v19
	v_addc_co_u32_e32 v20, vcc, v10, v20, vcc
	s_waitcnt lgkmcnt(0)
	global_store_short v[19:20], v11, off
	s_or_b64 exec, exec, s[2:3]
	s_and_saveexec_b64 s[2:3], s[6:7]
	s_cbranch_execz .LBB14_108
.LBB14_144:
	v_mul_lo_u32 v11, s19, v0
	v_mul_lo_u32 v21, s18, v1
	v_mad_u64_u32 v[19:20], s[16:17], s18, v0, 0
	v_add3_u32 v20, v20, v21, v11
	ds_read_u16 v11, v12 offset:32
	v_lshlrev_b64 v[19:20], 1, v[19:20]
	v_add_co_u32_e32 v19, vcc, v3, v19
	v_addc_co_u32_e32 v20, vcc, v10, v20, vcc
	s_waitcnt lgkmcnt(0)
	global_store_short v[19:20], v11, off
	s_or_b64 exec, exec, s[2:3]
	s_and_saveexec_b64 s[2:3], s[12:13]
	s_cbranch_execz .LBB14_109
.LBB14_145:
	v_mul_lo_u32 v11, s19, v6
	v_mul_lo_u32 v21, s18, v7
	v_mad_u64_u32 v[19:20], s[16:17], s18, v6, 0
	v_add3_u32 v20, v20, v21, v11
	ds_read_u16 v11, v12 offset:64
	v_lshlrev_b64 v[19:20], 1, v[19:20]
	v_add_co_u32_e32 v19, vcc, v3, v19
	v_addc_co_u32_e32 v20, vcc, v10, v20, vcc
	s_waitcnt lgkmcnt(0)
	global_store_short v[19:20], v11, off
	s_or_b64 exec, exec, s[2:3]
	s_and_saveexec_b64 s[2:3], s[14:15]
	s_cbranch_execnz .LBB14_110
	s_branch .LBB14_111
.LBB14_146:
	v_mul_lo_u32 v10, s19, v4
	v_mul_lo_u32 v11, s18, v5
	v_mad_u64_u32 v[4:5], s[2:3], s18, v4, 0
	v_add3_u32 v5, v5, v11, v10
	ds_read_u16 v10, v12 offset:4224
	v_lshlrev_b64 v[4:5], 1, v[4:5]
	v_add_co_u32_e32 v4, vcc, v2, v4
	v_addc_co_u32_e32 v5, vcc, v3, v5, vcc
	s_waitcnt lgkmcnt(0)
	global_store_short v[4:5], v10, off
	s_or_b64 exec, exec, s[0:1]
	s_and_saveexec_b64 s[0:1], s[6:7]
	s_cbranch_execz .LBB14_123
.LBB14_147:
	v_mul_lo_u32 v4, s19, v0
	v_mul_lo_u32 v5, s18, v1
	v_mad_u64_u32 v[0:1], s[2:3], s18, v0, 0
	v_add3_u32 v1, v1, v5, v4
	ds_read_u16 v4, v12 offset:4256
	v_lshlrev_b64 v[0:1], 1, v[0:1]
	v_add_co_u32_e32 v0, vcc, v2, v0
	v_addc_co_u32_e32 v1, vcc, v3, v1, vcc
	s_waitcnt lgkmcnt(0)
	global_store_short v[0:1], v4, off
	s_or_b64 exec, exec, s[0:1]
	s_and_saveexec_b64 s[0:1], s[12:13]
	s_cbranch_execz .LBB14_124
.LBB14_148:
	v_mul_lo_u32 v4, s19, v6
	v_mul_lo_u32 v5, s18, v7
	v_mad_u64_u32 v[0:1], s[2:3], s18, v6, 0
	v_add3_u32 v1, v1, v5, v4
	ds_read_u16 v4, v12 offset:4288
	v_lshlrev_b64 v[0:1], 1, v[0:1]
	v_add_co_u32_e32 v0, vcc, v2, v0
	v_addc_co_u32_e32 v1, vcc, v3, v1, vcc
	s_waitcnt lgkmcnt(0)
	global_store_short v[0:1], v4, off
	s_or_b64 exec, exec, s[0:1]
	s_and_saveexec_b64 s[0:1], s[14:15]
	s_cbranch_execnz .LBB14_125
	s_branch .LBB14_126
	.section	.rodata,"a",@progbits
	.p2align	6, 0x0
	.amdhsa_kernel _ZL20cpy_scalar_transposeI14__hip_bfloat16EvPKcPclllllllllllllll
		.amdhsa_group_segment_fixed_size 8448
		.amdhsa_private_segment_fixed_size 0
		.amdhsa_kernarg_size 136
		.amdhsa_user_sgpr_count 6
		.amdhsa_user_sgpr_private_segment_buffer 1
		.amdhsa_user_sgpr_dispatch_ptr 0
		.amdhsa_user_sgpr_queue_ptr 0
		.amdhsa_user_sgpr_kernarg_segment_ptr 1
		.amdhsa_user_sgpr_dispatch_id 0
		.amdhsa_user_sgpr_flat_scratch_init 0
		.amdhsa_user_sgpr_private_segment_size 0
		.amdhsa_uses_dynamic_stack 0
		.amdhsa_system_sgpr_private_segment_wavefront_offset 0
		.amdhsa_system_sgpr_workgroup_id_x 1
		.amdhsa_system_sgpr_workgroup_id_y 1
		.amdhsa_system_sgpr_workgroup_id_z 1
		.amdhsa_system_sgpr_workgroup_info 0
		.amdhsa_system_vgpr_workitem_id 1
		.amdhsa_next_free_vgpr 29
		.amdhsa_next_free_sgpr 61
		.amdhsa_reserve_vcc 1
		.amdhsa_reserve_flat_scratch 0
		.amdhsa_float_round_mode_32 0
		.amdhsa_float_round_mode_16_64 0
		.amdhsa_float_denorm_mode_32 3
		.amdhsa_float_denorm_mode_16_64 3
		.amdhsa_dx10_clamp 1
		.amdhsa_ieee_mode 1
		.amdhsa_fp16_overflow 0
		.amdhsa_exception_fp_ieee_invalid_op 0
		.amdhsa_exception_fp_denorm_src 0
		.amdhsa_exception_fp_ieee_div_zero 0
		.amdhsa_exception_fp_ieee_overflow 0
		.amdhsa_exception_fp_ieee_underflow 0
		.amdhsa_exception_fp_ieee_inexact 0
		.amdhsa_exception_int_div_zero 0
	.end_amdhsa_kernel
	.section	.text._ZL20cpy_scalar_transposeI14__hip_bfloat16EvPKcPclllllllllllllll,"axG",@progbits,_ZL20cpy_scalar_transposeI14__hip_bfloat16EvPKcPclllllllllllllll,comdat
.Lfunc_end14:
	.size	_ZL20cpy_scalar_transposeI14__hip_bfloat16EvPKcPclllllllllllllll, .Lfunc_end14-_ZL20cpy_scalar_transposeI14__hip_bfloat16EvPKcPclllllllllllllll
                                        ; -- End function
	.set _ZL20cpy_scalar_transposeI14__hip_bfloat16EvPKcPclllllllllllllll.num_vgpr, 22
	.set _ZL20cpy_scalar_transposeI14__hip_bfloat16EvPKcPclllllllllllllll.num_agpr, 0
	.set _ZL20cpy_scalar_transposeI14__hip_bfloat16EvPKcPclllllllllllllll.numbered_sgpr, 35
	.set _ZL20cpy_scalar_transposeI14__hip_bfloat16EvPKcPclllllllllllllll.num_named_barrier, 0
	.set _ZL20cpy_scalar_transposeI14__hip_bfloat16EvPKcPclllllllllllllll.private_seg_size, 0
	.set _ZL20cpy_scalar_transposeI14__hip_bfloat16EvPKcPclllllllllllllll.uses_vcc, 1
	.set _ZL20cpy_scalar_transposeI14__hip_bfloat16EvPKcPclllllllllllllll.uses_flat_scratch, 0
	.set _ZL20cpy_scalar_transposeI14__hip_bfloat16EvPKcPclllllllllllllll.has_dyn_sized_stack, 0
	.set _ZL20cpy_scalar_transposeI14__hip_bfloat16EvPKcPclllllllllllllll.has_recursion, 0
	.set _ZL20cpy_scalar_transposeI14__hip_bfloat16EvPKcPclllllllllllllll.has_indirect_call, 0
	.section	.AMDGPU.csdata,"",@progbits
; Kernel info:
; codeLenInByte = 7540
; TotalNumSgprs: 39
; NumVgprs: 22
; ScratchSize: 0
; MemoryBound: 0
; FloatMode: 240
; IeeeMode: 1
; LDSByteSize: 8448 bytes/workgroup (compile time only)
; SGPRBlocks: 8
; VGPRBlocks: 7
; NumSGPRsForWavesPerEU: 65
; NumVGPRsForWavesPerEU: 29
; Occupancy: 8
; WaveLimiterHint : 0
; COMPUTE_PGM_RSRC2:SCRATCH_EN: 0
; COMPUTE_PGM_RSRC2:USER_SGPR: 6
; COMPUTE_PGM_RSRC2:TRAP_HANDLER: 0
; COMPUTE_PGM_RSRC2:TGID_X_EN: 1
; COMPUTE_PGM_RSRC2:TGID_Y_EN: 1
; COMPUTE_PGM_RSRC2:TGID_Z_EN: 1
; COMPUTE_PGM_RSRC2:TIDIG_COMP_CNT: 1
	.section	.text._ZL10cpy_scalarIXadL_ZL12cpy_1_scalarIf14__hip_bfloat16EvPKcPcEEEvS3_S4_lllllllllllllll,"axG",@progbits,_ZL10cpy_scalarIXadL_ZL12cpy_1_scalarIf14__hip_bfloat16EvPKcPcEEEvS3_S4_lllllllllllllll,comdat
	.globl	_ZL10cpy_scalarIXadL_ZL12cpy_1_scalarIf14__hip_bfloat16EvPKcPcEEEvS3_S4_lllllllllllllll ; -- Begin function _ZL10cpy_scalarIXadL_ZL12cpy_1_scalarIf14__hip_bfloat16EvPKcPcEEEvS3_S4_lllllllllllllll
	.p2align	8
	.type	_ZL10cpy_scalarIXadL_ZL12cpy_1_scalarIf14__hip_bfloat16EvPKcPcEEEvS3_S4_lllllllllllllll,@function
_ZL10cpy_scalarIXadL_ZL12cpy_1_scalarIf14__hip_bfloat16EvPKcPcEEEvS3_S4_lllllllllllllll: ; @_ZL10cpy_scalarIXadL_ZL12cpy_1_scalarIf14__hip_bfloat16EvPKcPcEEEvS3_S4_lllllllllllllll
; %bb.0:
	s_load_dword s0, s[4:5], 0x94
	v_mov_b32_e32 v2, 0
	s_load_dwordx16 s[8:23], s[4:5], 0x0
	v_mov_b32_e32 v1, v2
	v_mov_b32_e32 v3, s6
	s_waitcnt lgkmcnt(0)
	s_and_b32 s0, s0, 0xffff
	v_mad_u64_u32 v[4:5], s[0:1], s0, v3, v[0:1]
	v_cmp_gt_i64_e32 vcc, s[12:13], v[4:5]
	s_and_saveexec_b64 s[0:1], vcc
	s_cbranch_execz .LBB15_26
; %bb.1:
	s_mul_i32 s0, s16, s15
	s_mul_hi_u32 s1, s16, s14
	s_add_i32 s0, s1, s0
	s_mul_i32 s1, s17, s14
	s_mul_i32 s16, s16, s14
	s_add_i32 s17, s0, s1
	s_mul_i32 s0, s16, s19
	s_mul_hi_u32 s1, s16, s18
	s_add_i32 s0, s1, s0
	s_mul_i32 s1, s17, s18
	s_add_i32 s19, s0, s1
	v_or_b32_e32 v3, s19, v5
	v_cmp_ne_u64_e32 vcc, 0, v[2:3]
	s_mul_i32 s18, s16, s18
	v_ashrrev_i32_e32 v10, 31, v5
                                        ; implicit-def: $vgpr0_vgpr1
	s_and_saveexec_b64 s[0:1], vcc
	s_xor_b64 s[2:3], exec, s[0:1]
	s_cbranch_execz .LBB15_3
; %bb.2:
	s_ashr_i32 s6, s19, 31
	s_add_u32 s0, s18, s6
	s_mov_b32 s7, s6
	s_addc_u32 s1, s19, s6
	s_xor_b64 s[12:13], s[0:1], s[6:7]
	v_cvt_f32_u32_e32 v0, s12
	v_cvt_f32_u32_e32 v1, s13
	s_sub_u32 s7, 0, s12
	s_subb_u32 s24, 0, s13
	v_madmk_f32 v0, v1, 0x4f800000, v0
	v_rcp_f32_e32 v0, v0
	v_mul_f32_e32 v0, 0x5f7ffffc, v0
	v_mul_f32_e32 v1, 0x2f800000, v0
	v_trunc_f32_e32 v1, v1
	v_madmk_f32 v0, v1, 0xcf800000, v0
	v_cvt_u32_f32_e32 v1, v1
	v_cvt_u32_f32_e32 v0, v0
	v_readfirstlane_b32 s25, v1
	v_readfirstlane_b32 s0, v0
	s_mul_i32 s1, s7, s25
	s_mul_hi_u32 s27, s7, s0
	s_mul_i32 s26, s24, s0
	s_add_i32 s1, s27, s1
	s_add_i32 s1, s1, s26
	s_mul_i32 s28, s7, s0
	s_mul_i32 s27, s0, s1
	s_mul_hi_u32 s29, s0, s28
	s_mul_hi_u32 s26, s0, s1
	s_add_u32 s27, s29, s27
	s_addc_u32 s26, 0, s26
	s_mul_hi_u32 s30, s25, s28
	s_mul_i32 s28, s25, s28
	s_add_u32 s27, s27, s28
	s_mul_hi_u32 s29, s25, s1
	s_addc_u32 s26, s26, s30
	s_addc_u32 s27, s29, 0
	s_mul_i32 s1, s25, s1
	s_add_u32 s1, s26, s1
	s_addc_u32 s26, 0, s27
	s_add_u32 s27, s0, s1
	s_cselect_b64 s[0:1], -1, 0
	s_cmp_lg_u64 s[0:1], 0
	s_addc_u32 s25, s25, s26
	s_mul_i32 s0, s7, s25
	s_mul_hi_u32 s1, s7, s27
	s_add_i32 s0, s1, s0
	s_mul_i32 s24, s24, s27
	s_add_i32 s0, s0, s24
	s_mul_i32 s7, s7, s27
	s_mul_hi_u32 s24, s25, s7
	s_mul_i32 s26, s25, s7
	s_mul_i32 s29, s27, s0
	s_mul_hi_u32 s7, s27, s7
	s_mul_hi_u32 s28, s27, s0
	s_add_u32 s7, s7, s29
	s_addc_u32 s28, 0, s28
	s_add_u32 s7, s7, s26
	s_mul_hi_u32 s1, s25, s0
	s_addc_u32 s7, s28, s24
	s_addc_u32 s1, s1, 0
	s_mul_i32 s0, s25, s0
	s_add_u32 s0, s7, s0
	s_addc_u32 s7, 0, s1
	s_add_u32 s24, s27, s0
	s_cselect_b64 s[0:1], -1, 0
	s_cmp_lg_u64 s[0:1], 0
	v_add_co_u32_e32 v0, vcc, v4, v10
	s_addc_u32 s7, s25, s7
	v_xor_b32_e32 v6, v0, v10
	v_mad_u64_u32 v[0:1], s[0:1], v6, s7, 0
	v_mul_hi_u32 v3, v6, s24
	v_addc_co_u32_e32 v2, vcc, v5, v10, vcc
	v_xor_b32_e32 v7, v2, v10
	v_add_co_u32_e32 v8, vcc, v3, v0
	v_addc_co_u32_e32 v9, vcc, 0, v1, vcc
	v_mad_u64_u32 v[0:1], s[0:1], v7, s24, 0
	v_mad_u64_u32 v[2:3], s[0:1], v7, s7, 0
	v_add_co_u32_e32 v0, vcc, v8, v0
	v_addc_co_u32_e32 v0, vcc, v9, v1, vcc
	v_addc_co_u32_e32 v1, vcc, 0, v3, vcc
	v_add_co_u32_e32 v2, vcc, v0, v2
	v_addc_co_u32_e32 v3, vcc, 0, v1, vcc
	v_mul_lo_u32 v8, s13, v2
	v_mul_lo_u32 v9, s12, v3
	v_mad_u64_u32 v[0:1], s[0:1], s12, v2, 0
	v_add3_u32 v1, v1, v9, v8
	v_sub_u32_e32 v8, v7, v1
	v_mov_b32_e32 v9, s13
	v_sub_co_u32_e32 v0, vcc, v6, v0
	v_subb_co_u32_e64 v6, s[0:1], v8, v9, vcc
	v_subrev_co_u32_e64 v8, s[0:1], s12, v0
	v_subbrev_co_u32_e64 v6, s[0:1], 0, v6, s[0:1]
	v_cmp_le_u32_e64 s[0:1], s13, v6
	v_cndmask_b32_e64 v9, 0, -1, s[0:1]
	v_cmp_le_u32_e64 s[0:1], s12, v8
	v_cndmask_b32_e64 v8, 0, -1, s[0:1]
	v_cmp_eq_u32_e64 s[0:1], s13, v6
	v_cndmask_b32_e64 v6, v9, v8, s[0:1]
	v_add_co_u32_e64 v8, s[0:1], 2, v2
	v_subb_co_u32_e32 v1, vcc, v7, v1, vcc
	v_addc_co_u32_e64 v9, s[0:1], 0, v3, s[0:1]
	v_cmp_le_u32_e32 vcc, s13, v1
	v_add_co_u32_e64 v11, s[0:1], 1, v2
	v_cndmask_b32_e64 v7, 0, -1, vcc
	v_cmp_le_u32_e32 vcc, s12, v0
	v_addc_co_u32_e64 v12, s[0:1], 0, v3, s[0:1]
	v_cndmask_b32_e64 v0, 0, -1, vcc
	v_cmp_eq_u32_e32 vcc, s13, v1
	v_cmp_ne_u32_e64 s[0:1], 0, v6
	v_cndmask_b32_e32 v0, v7, v0, vcc
	v_cndmask_b32_e64 v6, v12, v9, s[0:1]
	v_cmp_ne_u32_e32 vcc, 0, v0
	v_cndmask_b32_e64 v1, v11, v8, s[0:1]
	v_cndmask_b32_e32 v0, v3, v6, vcc
	v_cndmask_b32_e32 v1, v2, v1, vcc
	v_xor_b32_e32 v2, s6, v10
	v_xor_b32_e32 v3, v0, v2
	;; [unrolled: 1-line block ×3, first 2 shown]
	v_sub_co_u32_e32 v0, vcc, v0, v2
	v_subb_co_u32_e32 v1, vcc, v3, v2, vcc
.LBB15_3:
	s_andn2_saveexec_b64 s[0:1], s[2:3]
	s_cbranch_execz .LBB15_5
; %bb.4:
	v_cvt_f32_u32_e32 v0, s18
	s_sub_i32 s2, 0, s18
	v_rcp_iflag_f32_e32 v0, v0
	v_mul_f32_e32 v0, 0x4f7ffffe, v0
	v_cvt_u32_f32_e32 v0, v0
	v_mul_lo_u32 v1, s2, v0
	v_mul_hi_u32 v1, v0, v1
	v_add_u32_e32 v0, v0, v1
	v_mul_hi_u32 v0, v4, v0
	v_mul_lo_u32 v1, v0, s18
	v_add_u32_e32 v2, 1, v0
	v_sub_u32_e32 v1, v4, v1
	v_subrev_u32_e32 v3, s18, v1
	v_cmp_le_u32_e32 vcc, s18, v1
	v_cndmask_b32_e32 v1, v1, v3, vcc
	v_cndmask_b32_e32 v0, v0, v2, vcc
	v_add_u32_e32 v2, 1, v0
	v_cmp_le_u32_e32 vcc, s18, v1
	v_cndmask_b32_e32 v0, v0, v2, vcc
	v_mov_b32_e32 v1, 0
.LBB15_5:
	s_or_b64 exec, exec, s[0:1]
	v_mul_lo_u32 v6, s19, v0
	v_mul_lo_u32 v7, s18, v1
	v_mad_u64_u32 v[2:3], s[0:1], s18, v0, 0
	v_add3_u32 v3, v3, v7, v6
	v_sub_co_u32_e32 v6, vcc, v4, v2
	v_subb_co_u32_e32 v7, vcc, v5, v3, vcc
	v_or_b32_e32 v3, s17, v7
	v_mov_b32_e32 v2, 0
	v_cmp_ne_u64_e32 vcc, 0, v[2:3]
                                        ; implicit-def: $vgpr2_vgpr3
	s_and_saveexec_b64 s[0:1], vcc
	s_xor_b64 s[2:3], exec, s[0:1]
	s_cbranch_execz .LBB15_7
; %bb.6:
	s_ashr_i32 s6, s17, 31
	s_add_u32 s0, s16, s6
	s_mov_b32 s7, s6
	s_addc_u32 s1, s17, s6
	s_xor_b64 s[12:13], s[0:1], s[6:7]
	v_cvt_f32_u32_e32 v2, s12
	v_cvt_f32_u32_e32 v3, s13
	s_sub_u32 s7, 0, s12
	s_subb_u32 s18, 0, s13
	v_ashrrev_i32_e32 v11, 31, v7
	v_madmk_f32 v2, v3, 0x4f800000, v2
	v_rcp_f32_e32 v2, v2
	v_mul_f32_e32 v2, 0x5f7ffffc, v2
	v_mul_f32_e32 v3, 0x2f800000, v2
	v_trunc_f32_e32 v3, v3
	v_madmk_f32 v2, v3, 0xcf800000, v2
	v_cvt_u32_f32_e32 v3, v3
	v_cvt_u32_f32_e32 v2, v2
	v_readfirstlane_b32 s19, v3
	v_readfirstlane_b32 s0, v2
	s_mul_i32 s1, s7, s19
	s_mul_hi_u32 s25, s7, s0
	s_mul_i32 s24, s18, s0
	s_add_i32 s1, s25, s1
	s_add_i32 s1, s1, s24
	s_mul_i32 s26, s7, s0
	s_mul_i32 s25, s0, s1
	s_mul_hi_u32 s27, s0, s26
	s_mul_hi_u32 s24, s0, s1
	s_add_u32 s25, s27, s25
	s_addc_u32 s24, 0, s24
	s_mul_hi_u32 s28, s19, s26
	s_mul_i32 s26, s19, s26
	s_add_u32 s25, s25, s26
	s_mul_hi_u32 s27, s19, s1
	s_addc_u32 s24, s24, s28
	s_addc_u32 s25, s27, 0
	s_mul_i32 s1, s19, s1
	s_add_u32 s1, s24, s1
	s_addc_u32 s24, 0, s25
	s_add_u32 s25, s0, s1
	s_cselect_b64 s[0:1], -1, 0
	s_cmp_lg_u64 s[0:1], 0
	s_addc_u32 s19, s19, s24
	s_mul_i32 s0, s7, s19
	s_mul_hi_u32 s1, s7, s25
	s_add_i32 s0, s1, s0
	s_mul_i32 s18, s18, s25
	s_add_i32 s0, s0, s18
	s_mul_i32 s7, s7, s25
	s_mul_hi_u32 s18, s19, s7
	s_mul_i32 s24, s19, s7
	s_mul_i32 s27, s25, s0
	s_mul_hi_u32 s7, s25, s7
	s_mul_hi_u32 s26, s25, s0
	s_add_u32 s7, s7, s27
	s_addc_u32 s26, 0, s26
	s_add_u32 s7, s7, s24
	s_mul_hi_u32 s1, s19, s0
	s_addc_u32 s7, s26, s18
	s_addc_u32 s1, s1, 0
	s_mul_i32 s0, s19, s0
	s_add_u32 s0, s7, s0
	s_addc_u32 s7, 0, s1
	s_add_u32 s18, s25, s0
	s_cselect_b64 s[0:1], -1, 0
	s_cmp_lg_u64 s[0:1], 0
	v_add_co_u32_e32 v2, vcc, v6, v11
	s_addc_u32 s7, s19, s7
	v_xor_b32_e32 v12, v2, v11
	v_mad_u64_u32 v[2:3], s[0:1], v12, s7, 0
	v_mul_hi_u32 v9, v12, s18
	v_addc_co_u32_e32 v8, vcc, v7, v11, vcc
	v_xor_b32_e32 v13, v8, v11
	v_add_co_u32_e32 v14, vcc, v9, v2
	v_addc_co_u32_e32 v15, vcc, 0, v3, vcc
	v_mad_u64_u32 v[2:3], s[0:1], v13, s18, 0
	v_mad_u64_u32 v[8:9], s[0:1], v13, s7, 0
	v_add_co_u32_e32 v2, vcc, v14, v2
	v_addc_co_u32_e32 v2, vcc, v15, v3, vcc
	v_addc_co_u32_e32 v3, vcc, 0, v9, vcc
	v_add_co_u32_e32 v8, vcc, v2, v8
	v_addc_co_u32_e32 v9, vcc, 0, v3, vcc
	v_mul_lo_u32 v14, s13, v8
	v_mul_lo_u32 v15, s12, v9
	v_mad_u64_u32 v[2:3], s[0:1], s12, v8, 0
	v_add3_u32 v3, v3, v15, v14
	v_sub_u32_e32 v14, v13, v3
	v_mov_b32_e32 v15, s13
	v_sub_co_u32_e32 v2, vcc, v12, v2
	v_subb_co_u32_e64 v12, s[0:1], v14, v15, vcc
	v_subrev_co_u32_e64 v14, s[0:1], s12, v2
	v_subbrev_co_u32_e64 v12, s[0:1], 0, v12, s[0:1]
	v_cmp_le_u32_e64 s[0:1], s13, v12
	v_cndmask_b32_e64 v15, 0, -1, s[0:1]
	v_cmp_le_u32_e64 s[0:1], s12, v14
	v_cndmask_b32_e64 v14, 0, -1, s[0:1]
	v_cmp_eq_u32_e64 s[0:1], s13, v12
	v_cndmask_b32_e64 v12, v15, v14, s[0:1]
	v_add_co_u32_e64 v14, s[0:1], 2, v8
	v_subb_co_u32_e32 v3, vcc, v13, v3, vcc
	v_addc_co_u32_e64 v15, s[0:1], 0, v9, s[0:1]
	v_cmp_le_u32_e32 vcc, s13, v3
	v_add_co_u32_e64 v16, s[0:1], 1, v8
	v_cndmask_b32_e64 v13, 0, -1, vcc
	v_cmp_le_u32_e32 vcc, s12, v2
	v_addc_co_u32_e64 v17, s[0:1], 0, v9, s[0:1]
	v_cndmask_b32_e64 v2, 0, -1, vcc
	v_cmp_eq_u32_e32 vcc, s13, v3
	v_cmp_ne_u32_e64 s[0:1], 0, v12
	v_cndmask_b32_e32 v2, v13, v2, vcc
	v_cndmask_b32_e64 v12, v17, v15, s[0:1]
	v_cmp_ne_u32_e32 vcc, 0, v2
	v_cndmask_b32_e64 v3, v16, v14, s[0:1]
	v_cndmask_b32_e32 v2, v9, v12, vcc
	v_cndmask_b32_e32 v3, v8, v3, vcc
	v_xor_b32_e32 v8, s6, v11
	v_xor_b32_e32 v9, v2, v8
	;; [unrolled: 1-line block ×3, first 2 shown]
	v_sub_co_u32_e32 v2, vcc, v2, v8
	v_subb_co_u32_e32 v3, vcc, v9, v8, vcc
.LBB15_7:
	s_andn2_saveexec_b64 s[0:1], s[2:3]
	s_cbranch_execz .LBB15_9
; %bb.8:
	v_cvt_f32_u32_e32 v2, s16
	s_sub_i32 s2, 0, s16
	v_rcp_iflag_f32_e32 v2, v2
	v_mul_f32_e32 v2, 0x4f7ffffe, v2
	v_cvt_u32_f32_e32 v2, v2
	v_mul_lo_u32 v3, s2, v2
	v_mul_hi_u32 v3, v2, v3
	v_add_u32_e32 v2, v2, v3
	v_mul_hi_u32 v2, v6, v2
	v_mul_lo_u32 v3, v2, s16
	v_add_u32_e32 v8, 1, v2
	v_sub_u32_e32 v3, v6, v3
	v_subrev_u32_e32 v9, s16, v3
	v_cmp_le_u32_e32 vcc, s16, v3
	v_cndmask_b32_e32 v3, v3, v9, vcc
	v_cndmask_b32_e32 v2, v2, v8, vcc
	v_add_u32_e32 v8, 1, v2
	v_cmp_le_u32_e32 vcc, s16, v3
	v_cndmask_b32_e32 v2, v2, v8, vcc
	v_mov_b32_e32 v3, 0
.LBB15_9:
	s_or_b64 exec, exec, s[0:1]
	v_mul_lo_u32 v11, s17, v2
	v_mul_lo_u32 v12, s16, v3
	v_mad_u64_u32 v[8:9], s[0:1], s16, v2, 0
	v_add3_u32 v9, v9, v12, v11
	v_sub_co_u32_e32 v12, vcc, v6, v8
	v_subb_co_u32_e32 v13, vcc, v7, v9, vcc
	v_or_b32_e32 v7, s15, v13
	v_mov_b32_e32 v6, 0
	v_cmp_ne_u64_e32 vcc, 0, v[6:7]
                                        ; implicit-def: $vgpr6_vgpr7
	s_and_saveexec_b64 s[0:1], vcc
	s_xor_b64 s[2:3], exec, s[0:1]
	s_cbranch_execz .LBB15_11
; %bb.10:
	s_ashr_i32 s6, s15, 31
	s_add_u32 s0, s14, s6
	s_mov_b32 s7, s6
	s_addc_u32 s1, s15, s6
	s_xor_b64 s[12:13], s[0:1], s[6:7]
	v_cvt_f32_u32_e32 v6, s12
	v_cvt_f32_u32_e32 v7, s13
	s_sub_u32 s7, 0, s12
	s_subb_u32 s16, 0, s13
	v_ashrrev_i32_e32 v11, 31, v13
	v_madmk_f32 v6, v7, 0x4f800000, v6
	v_rcp_f32_e32 v6, v6
	v_mul_f32_e32 v6, 0x5f7ffffc, v6
	v_mul_f32_e32 v7, 0x2f800000, v6
	v_trunc_f32_e32 v7, v7
	v_madmk_f32 v6, v7, 0xcf800000, v6
	v_cvt_u32_f32_e32 v7, v7
	v_cvt_u32_f32_e32 v6, v6
	v_readfirstlane_b32 s17, v7
	v_readfirstlane_b32 s0, v6
	s_mul_i32 s1, s7, s17
	s_mul_hi_u32 s19, s7, s0
	s_mul_i32 s18, s16, s0
	s_add_i32 s1, s19, s1
	s_add_i32 s1, s1, s18
	s_mul_i32 s24, s7, s0
	s_mul_i32 s19, s0, s1
	s_mul_hi_u32 s25, s0, s24
	s_mul_hi_u32 s18, s0, s1
	s_add_u32 s19, s25, s19
	s_addc_u32 s18, 0, s18
	s_mul_hi_u32 s26, s17, s24
	s_mul_i32 s24, s17, s24
	s_add_u32 s19, s19, s24
	s_mul_hi_u32 s25, s17, s1
	s_addc_u32 s18, s18, s26
	s_addc_u32 s19, s25, 0
	s_mul_i32 s1, s17, s1
	s_add_u32 s1, s18, s1
	s_addc_u32 s18, 0, s19
	s_add_u32 s19, s0, s1
	s_cselect_b64 s[0:1], -1, 0
	s_cmp_lg_u64 s[0:1], 0
	s_addc_u32 s17, s17, s18
	s_mul_i32 s0, s7, s17
	s_mul_hi_u32 s1, s7, s19
	s_add_i32 s0, s1, s0
	s_mul_i32 s16, s16, s19
	s_add_i32 s0, s0, s16
	s_mul_i32 s7, s7, s19
	s_mul_hi_u32 s16, s17, s7
	s_mul_i32 s18, s17, s7
	s_mul_i32 s25, s19, s0
	s_mul_hi_u32 s7, s19, s7
	s_mul_hi_u32 s24, s19, s0
	s_add_u32 s7, s7, s25
	s_addc_u32 s24, 0, s24
	s_add_u32 s7, s7, s18
	s_mul_hi_u32 s1, s17, s0
	s_addc_u32 s7, s24, s16
	s_addc_u32 s1, s1, 0
	s_mul_i32 s0, s17, s0
	s_add_u32 s0, s7, s0
	s_addc_u32 s7, 0, s1
	s_add_u32 s16, s19, s0
	s_cselect_b64 s[0:1], -1, 0
	s_cmp_lg_u64 s[0:1], 0
	v_add_co_u32_e32 v6, vcc, v12, v11
	s_addc_u32 s7, s17, s7
	v_xor_b32_e32 v14, v6, v11
	v_mad_u64_u32 v[6:7], s[0:1], v14, s7, 0
	v_mul_hi_u32 v9, v14, s16
	v_addc_co_u32_e32 v8, vcc, v13, v11, vcc
	v_xor_b32_e32 v15, v8, v11
	v_add_co_u32_e32 v16, vcc, v9, v6
	v_addc_co_u32_e32 v17, vcc, 0, v7, vcc
	v_mad_u64_u32 v[6:7], s[0:1], v15, s16, 0
	v_mad_u64_u32 v[8:9], s[0:1], v15, s7, 0
	v_add_co_u32_e32 v6, vcc, v16, v6
	v_addc_co_u32_e32 v6, vcc, v17, v7, vcc
	v_addc_co_u32_e32 v7, vcc, 0, v9, vcc
	v_add_co_u32_e32 v8, vcc, v6, v8
	v_addc_co_u32_e32 v9, vcc, 0, v7, vcc
	v_mul_lo_u32 v16, s13, v8
	v_mul_lo_u32 v17, s12, v9
	v_mad_u64_u32 v[6:7], s[0:1], s12, v8, 0
	v_add3_u32 v7, v7, v17, v16
	v_sub_u32_e32 v16, v15, v7
	v_mov_b32_e32 v17, s13
	v_sub_co_u32_e32 v6, vcc, v14, v6
	v_subb_co_u32_e64 v14, s[0:1], v16, v17, vcc
	v_subrev_co_u32_e64 v16, s[0:1], s12, v6
	v_subbrev_co_u32_e64 v14, s[0:1], 0, v14, s[0:1]
	v_cmp_le_u32_e64 s[0:1], s13, v14
	v_cndmask_b32_e64 v17, 0, -1, s[0:1]
	v_cmp_le_u32_e64 s[0:1], s12, v16
	v_cndmask_b32_e64 v16, 0, -1, s[0:1]
	v_cmp_eq_u32_e64 s[0:1], s13, v14
	v_cndmask_b32_e64 v14, v17, v16, s[0:1]
	v_add_co_u32_e64 v16, s[0:1], 2, v8
	v_subb_co_u32_e32 v7, vcc, v15, v7, vcc
	v_addc_co_u32_e64 v17, s[0:1], 0, v9, s[0:1]
	v_cmp_le_u32_e32 vcc, s13, v7
	v_add_co_u32_e64 v18, s[0:1], 1, v8
	v_cndmask_b32_e64 v15, 0, -1, vcc
	v_cmp_le_u32_e32 vcc, s12, v6
	v_addc_co_u32_e64 v19, s[0:1], 0, v9, s[0:1]
	v_cndmask_b32_e64 v6, 0, -1, vcc
	v_cmp_eq_u32_e32 vcc, s13, v7
	v_cmp_ne_u32_e64 s[0:1], 0, v14
	v_cndmask_b32_e32 v6, v15, v6, vcc
	v_cndmask_b32_e64 v14, v19, v17, s[0:1]
	v_cmp_ne_u32_e32 vcc, 0, v6
	v_cndmask_b32_e64 v7, v18, v16, s[0:1]
	v_cndmask_b32_e32 v6, v9, v14, vcc
	v_cndmask_b32_e32 v7, v8, v7, vcc
	v_xor_b32_e32 v8, s6, v11
	v_xor_b32_e32 v9, v6, v8
	;; [unrolled: 1-line block ×3, first 2 shown]
	v_sub_co_u32_e32 v6, vcc, v6, v8
	v_subb_co_u32_e32 v7, vcc, v9, v8, vcc
.LBB15_11:
	s_andn2_saveexec_b64 s[0:1], s[2:3]
	s_cbranch_execz .LBB15_13
; %bb.12:
	v_cvt_f32_u32_e32 v6, s14
	s_sub_i32 s2, 0, s14
	v_rcp_iflag_f32_e32 v6, v6
	v_mul_f32_e32 v6, 0x4f7ffffe, v6
	v_cvt_u32_f32_e32 v6, v6
	v_mul_lo_u32 v7, s2, v6
	v_mul_hi_u32 v7, v6, v7
	v_add_u32_e32 v6, v6, v7
	v_mul_hi_u32 v6, v12, v6
	v_mul_lo_u32 v7, v6, s14
	v_add_u32_e32 v8, 1, v6
	v_sub_u32_e32 v7, v12, v7
	v_subrev_u32_e32 v9, s14, v7
	v_cmp_le_u32_e32 vcc, s14, v7
	v_cndmask_b32_e32 v7, v7, v9, vcc
	v_cndmask_b32_e32 v6, v6, v8, vcc
	v_add_u32_e32 v8, 1, v6
	v_cmp_le_u32_e32 vcc, s14, v7
	v_cndmask_b32_e32 v6, v6, v8, vcc
	v_mov_b32_e32 v7, 0
.LBB15_13:
	s_or_b64 exec, exec, s[0:1]
	s_load_dwordx16 s[36:51], s[4:5], 0x40
	v_mov_b32_e32 v8, 0
	s_waitcnt lgkmcnt(0)
	s_mul_i32 s0, s42, s41
	s_mul_hi_u32 s1, s42, s40
	s_mul_i32 s2, s43, s40
	s_mul_i32 s16, s42, s40
	s_add_i32 s17, s1, s0
	s_mul_i32 s0, s16, s45
	s_add_i32 s17, s17, s2
	s_mul_hi_u32 s1, s16, s44
	s_add_i32 s0, s1, s0
	s_mul_i32 s1, s17, s44
	s_add_i32 s18, s0, s1
	v_or_b32_e32 v9, s18, v5
	v_cmp_ne_u64_e32 vcc, 0, v[8:9]
	s_mul_i32 s19, s16, s44
                                        ; implicit-def: $vgpr8_vgpr9
	s_and_saveexec_b64 s[0:1], vcc
	s_xor_b64 s[2:3], exec, s[0:1]
	s_cbranch_execz .LBB15_15
; %bb.14:
	s_ashr_i32 s6, s18, 31
	s_add_u32 s0, s19, s6
	s_mov_b32 s7, s6
	s_addc_u32 s1, s18, s6
	s_xor_b64 s[12:13], s[0:1], s[6:7]
	v_cvt_f32_u32_e32 v8, s12
	v_cvt_f32_u32_e32 v9, s13
	s_sub_u32 s7, 0, s12
	s_subb_u32 s24, 0, s13
	v_madmk_f32 v8, v9, 0x4f800000, v8
	v_rcp_f32_e32 v8, v8
	v_mul_f32_e32 v8, 0x5f7ffffc, v8
	v_mul_f32_e32 v9, 0x2f800000, v8
	v_trunc_f32_e32 v9, v9
	v_madmk_f32 v8, v9, 0xcf800000, v8
	v_cvt_u32_f32_e32 v9, v9
	v_cvt_u32_f32_e32 v8, v8
	v_readfirstlane_b32 s25, v9
	v_readfirstlane_b32 s0, v8
	s_mul_i32 s1, s7, s25
	s_mul_hi_u32 s27, s7, s0
	s_mul_i32 s26, s24, s0
	s_add_i32 s1, s27, s1
	s_add_i32 s1, s1, s26
	s_mul_i32 s28, s7, s0
	s_mul_i32 s27, s0, s1
	s_mul_hi_u32 s29, s0, s28
	s_mul_hi_u32 s26, s0, s1
	s_add_u32 s27, s29, s27
	s_addc_u32 s26, 0, s26
	s_mul_hi_u32 s30, s25, s28
	s_mul_i32 s28, s25, s28
	s_add_u32 s27, s27, s28
	s_mul_hi_u32 s29, s25, s1
	s_addc_u32 s26, s26, s30
	s_addc_u32 s27, s29, 0
	s_mul_i32 s1, s25, s1
	s_add_u32 s1, s26, s1
	s_addc_u32 s26, 0, s27
	s_add_u32 s27, s0, s1
	s_cselect_b64 s[0:1], -1, 0
	s_cmp_lg_u64 s[0:1], 0
	s_addc_u32 s25, s25, s26
	s_mul_i32 s0, s7, s25
	s_mul_hi_u32 s1, s7, s27
	s_add_i32 s0, s1, s0
	s_mul_i32 s24, s24, s27
	s_add_i32 s0, s0, s24
	s_mul_i32 s7, s7, s27
	s_mul_hi_u32 s24, s25, s7
	s_mul_i32 s26, s25, s7
	s_mul_i32 s29, s27, s0
	s_mul_hi_u32 s7, s27, s7
	s_mul_hi_u32 s28, s27, s0
	s_add_u32 s7, s7, s29
	s_addc_u32 s28, 0, s28
	s_add_u32 s7, s7, s26
	s_mul_hi_u32 s1, s25, s0
	s_addc_u32 s7, s28, s24
	s_addc_u32 s1, s1, 0
	s_mul_i32 s0, s25, s0
	s_add_u32 s0, s7, s0
	s_addc_u32 s7, 0, s1
	s_add_u32 s24, s27, s0
	s_cselect_b64 s[0:1], -1, 0
	s_cmp_lg_u64 s[0:1], 0
	v_add_co_u32_e32 v8, vcc, v4, v10
	s_addc_u32 s7, s25, s7
	v_xor_b32_e32 v16, v8, v10
	v_mad_u64_u32 v[8:9], s[0:1], v16, s7, 0
	v_mul_hi_u32 v14, v16, s24
	v_addc_co_u32_e32 v11, vcc, v5, v10, vcc
	v_xor_b32_e32 v11, v11, v10
	v_add_co_u32_e32 v17, vcc, v14, v8
	v_addc_co_u32_e32 v18, vcc, 0, v9, vcc
	v_mad_u64_u32 v[8:9], s[0:1], v11, s24, 0
	v_mad_u64_u32 v[14:15], s[0:1], v11, s7, 0
	v_add_co_u32_e32 v8, vcc, v17, v8
	v_addc_co_u32_e32 v8, vcc, v18, v9, vcc
	v_addc_co_u32_e32 v9, vcc, 0, v15, vcc
	v_add_co_u32_e32 v14, vcc, v8, v14
	v_addc_co_u32_e32 v15, vcc, 0, v9, vcc
	v_mul_lo_u32 v17, s13, v14
	v_mul_lo_u32 v18, s12, v15
	v_mad_u64_u32 v[8:9], s[0:1], s12, v14, 0
	v_xor_b32_e32 v10, s6, v10
	v_add3_u32 v9, v9, v18, v17
	v_sub_u32_e32 v17, v11, v9
	v_mov_b32_e32 v18, s13
	v_sub_co_u32_e32 v8, vcc, v16, v8
	v_subb_co_u32_e64 v16, s[0:1], v17, v18, vcc
	v_subrev_co_u32_e64 v17, s[0:1], s12, v8
	v_subbrev_co_u32_e64 v16, s[0:1], 0, v16, s[0:1]
	v_cmp_le_u32_e64 s[0:1], s13, v16
	v_cndmask_b32_e64 v18, 0, -1, s[0:1]
	v_cmp_le_u32_e64 s[0:1], s12, v17
	v_cndmask_b32_e64 v17, 0, -1, s[0:1]
	v_cmp_eq_u32_e64 s[0:1], s13, v16
	v_cndmask_b32_e64 v16, v18, v17, s[0:1]
	v_add_co_u32_e64 v17, s[0:1], 2, v14
	v_subb_co_u32_e32 v9, vcc, v11, v9, vcc
	v_addc_co_u32_e64 v18, s[0:1], 0, v15, s[0:1]
	v_cmp_le_u32_e32 vcc, s13, v9
	v_add_co_u32_e64 v19, s[0:1], 1, v14
	v_cndmask_b32_e64 v11, 0, -1, vcc
	v_cmp_le_u32_e32 vcc, s12, v8
	v_addc_co_u32_e64 v20, s[0:1], 0, v15, s[0:1]
	v_cndmask_b32_e64 v8, 0, -1, vcc
	v_cmp_eq_u32_e32 vcc, s13, v9
	v_cmp_ne_u32_e64 s[0:1], 0, v16
	v_cndmask_b32_e32 v8, v11, v8, vcc
	v_cndmask_b32_e64 v16, v20, v18, s[0:1]
	v_cmp_ne_u32_e32 vcc, 0, v8
	v_cndmask_b32_e64 v9, v19, v17, s[0:1]
	v_cndmask_b32_e32 v8, v15, v16, vcc
	v_cndmask_b32_e32 v9, v14, v9, vcc
	v_xor_b32_e32 v11, v8, v10
	v_xor_b32_e32 v8, v9, v10
	v_sub_co_u32_e32 v8, vcc, v8, v10
	v_subb_co_u32_e32 v9, vcc, v11, v10, vcc
.LBB15_15:
	s_andn2_saveexec_b64 s[0:1], s[2:3]
	s_cbranch_execz .LBB15_17
; %bb.16:
	v_cvt_f32_u32_e32 v8, s19
	s_sub_i32 s2, 0, s19
	v_rcp_iflag_f32_e32 v8, v8
	v_mul_f32_e32 v8, 0x4f7ffffe, v8
	v_cvt_u32_f32_e32 v8, v8
	v_mul_lo_u32 v9, s2, v8
	v_mul_hi_u32 v9, v8, v9
	v_add_u32_e32 v8, v8, v9
	v_mul_hi_u32 v8, v4, v8
	v_mul_lo_u32 v9, v8, s19
	v_add_u32_e32 v10, 1, v8
	v_sub_u32_e32 v9, v4, v9
	v_subrev_u32_e32 v11, s19, v9
	v_cmp_le_u32_e32 vcc, s19, v9
	v_cndmask_b32_e32 v9, v9, v11, vcc
	v_cndmask_b32_e32 v8, v8, v10, vcc
	v_add_u32_e32 v10, 1, v8
	v_cmp_le_u32_e32 vcc, s19, v9
	v_cndmask_b32_e32 v8, v8, v10, vcc
	v_mov_b32_e32 v9, 0
.LBB15_17:
	s_or_b64 exec, exec, s[0:1]
	v_mul_lo_u32 v14, s18, v8
	v_mul_lo_u32 v15, s19, v9
	v_mad_u64_u32 v[10:11], s[0:1], s19, v8, 0
	v_add3_u32 v11, v11, v15, v14
	v_sub_co_u32_e32 v10, vcc, v4, v10
	v_subb_co_u32_e32 v11, vcc, v5, v11, vcc
	v_or_b32_e32 v5, s17, v11
	v_mov_b32_e32 v4, 0
	v_cmp_ne_u64_e32 vcc, 0, v[4:5]
                                        ; implicit-def: $vgpr4_vgpr5
	s_and_saveexec_b64 s[0:1], vcc
	s_xor_b64 s[2:3], exec, s[0:1]
	s_cbranch_execz .LBB15_19
; %bb.18:
	s_ashr_i32 s6, s17, 31
	s_add_u32 s0, s16, s6
	s_mov_b32 s7, s6
	s_addc_u32 s1, s17, s6
	s_xor_b64 s[12:13], s[0:1], s[6:7]
	v_cvt_f32_u32_e32 v4, s12
	v_cvt_f32_u32_e32 v5, s13
	s_sub_u32 s7, 0, s12
	s_subb_u32 s18, 0, s13
	v_ashrrev_i32_e32 v16, 31, v11
	v_madmk_f32 v4, v5, 0x4f800000, v4
	v_rcp_f32_e32 v4, v4
	v_mul_f32_e32 v4, 0x5f7ffffc, v4
	v_mul_f32_e32 v5, 0x2f800000, v4
	v_trunc_f32_e32 v5, v5
	v_madmk_f32 v4, v5, 0xcf800000, v4
	v_cvt_u32_f32_e32 v5, v5
	v_cvt_u32_f32_e32 v4, v4
	v_readfirstlane_b32 s19, v5
	v_readfirstlane_b32 s0, v4
	s_mul_i32 s1, s7, s19
	s_mul_hi_u32 s25, s7, s0
	s_mul_i32 s24, s18, s0
	s_add_i32 s1, s25, s1
	s_add_i32 s1, s1, s24
	s_mul_i32 s26, s7, s0
	s_mul_i32 s25, s0, s1
	s_mul_hi_u32 s27, s0, s26
	s_mul_hi_u32 s24, s0, s1
	s_add_u32 s25, s27, s25
	s_addc_u32 s24, 0, s24
	s_mul_hi_u32 s28, s19, s26
	s_mul_i32 s26, s19, s26
	s_add_u32 s25, s25, s26
	s_mul_hi_u32 s27, s19, s1
	s_addc_u32 s24, s24, s28
	s_addc_u32 s25, s27, 0
	s_mul_i32 s1, s19, s1
	s_add_u32 s1, s24, s1
	s_addc_u32 s24, 0, s25
	s_add_u32 s25, s0, s1
	s_cselect_b64 s[0:1], -1, 0
	s_cmp_lg_u64 s[0:1], 0
	s_addc_u32 s19, s19, s24
	s_mul_i32 s0, s7, s19
	s_mul_hi_u32 s1, s7, s25
	s_add_i32 s0, s1, s0
	s_mul_i32 s18, s18, s25
	s_add_i32 s0, s0, s18
	s_mul_i32 s7, s7, s25
	s_mul_hi_u32 s18, s19, s7
	s_mul_i32 s24, s19, s7
	s_mul_i32 s27, s25, s0
	s_mul_hi_u32 s7, s25, s7
	s_mul_hi_u32 s26, s25, s0
	s_add_u32 s7, s7, s27
	s_addc_u32 s26, 0, s26
	s_add_u32 s7, s7, s24
	s_mul_hi_u32 s1, s19, s0
	s_addc_u32 s7, s26, s18
	s_addc_u32 s1, s1, 0
	s_mul_i32 s0, s19, s0
	s_add_u32 s0, s7, s0
	s_addc_u32 s7, 0, s1
	s_add_u32 s18, s25, s0
	s_cselect_b64 s[0:1], -1, 0
	s_cmp_lg_u64 s[0:1], 0
	v_add_co_u32_e32 v4, vcc, v10, v16
	s_addc_u32 s7, s19, s7
	v_xor_b32_e32 v17, v4, v16
	v_mad_u64_u32 v[4:5], s[0:1], v17, s7, 0
	v_mul_hi_u32 v15, v17, s18
	v_addc_co_u32_e32 v14, vcc, v11, v16, vcc
	v_xor_b32_e32 v18, v14, v16
	v_add_co_u32_e32 v19, vcc, v15, v4
	v_addc_co_u32_e32 v20, vcc, 0, v5, vcc
	v_mad_u64_u32 v[4:5], s[0:1], v18, s18, 0
	v_mad_u64_u32 v[14:15], s[0:1], v18, s7, 0
	v_add_co_u32_e32 v4, vcc, v19, v4
	v_addc_co_u32_e32 v4, vcc, v20, v5, vcc
	v_addc_co_u32_e32 v5, vcc, 0, v15, vcc
	v_add_co_u32_e32 v14, vcc, v4, v14
	v_addc_co_u32_e32 v15, vcc, 0, v5, vcc
	v_mul_lo_u32 v19, s13, v14
	v_mul_lo_u32 v20, s12, v15
	v_mad_u64_u32 v[4:5], s[0:1], s12, v14, 0
	v_add3_u32 v5, v5, v20, v19
	v_sub_u32_e32 v19, v18, v5
	v_mov_b32_e32 v20, s13
	v_sub_co_u32_e32 v4, vcc, v17, v4
	v_subb_co_u32_e64 v17, s[0:1], v19, v20, vcc
	v_subrev_co_u32_e64 v19, s[0:1], s12, v4
	v_subbrev_co_u32_e64 v17, s[0:1], 0, v17, s[0:1]
	v_cmp_le_u32_e64 s[0:1], s13, v17
	v_cndmask_b32_e64 v20, 0, -1, s[0:1]
	v_cmp_le_u32_e64 s[0:1], s12, v19
	v_cndmask_b32_e64 v19, 0, -1, s[0:1]
	v_cmp_eq_u32_e64 s[0:1], s13, v17
	v_cndmask_b32_e64 v17, v20, v19, s[0:1]
	v_add_co_u32_e64 v19, s[0:1], 2, v14
	v_subb_co_u32_e32 v5, vcc, v18, v5, vcc
	v_addc_co_u32_e64 v20, s[0:1], 0, v15, s[0:1]
	v_cmp_le_u32_e32 vcc, s13, v5
	v_add_co_u32_e64 v21, s[0:1], 1, v14
	v_cndmask_b32_e64 v18, 0, -1, vcc
	v_cmp_le_u32_e32 vcc, s12, v4
	v_addc_co_u32_e64 v22, s[0:1], 0, v15, s[0:1]
	v_cndmask_b32_e64 v4, 0, -1, vcc
	v_cmp_eq_u32_e32 vcc, s13, v5
	v_cmp_ne_u32_e64 s[0:1], 0, v17
	v_cndmask_b32_e32 v4, v18, v4, vcc
	v_cndmask_b32_e64 v17, v22, v20, s[0:1]
	v_cmp_ne_u32_e32 vcc, 0, v4
	v_cndmask_b32_e64 v5, v21, v19, s[0:1]
	v_cndmask_b32_e32 v4, v15, v17, vcc
	v_cndmask_b32_e32 v5, v14, v5, vcc
	v_xor_b32_e32 v14, s6, v16
	v_xor_b32_e32 v15, v4, v14
	;; [unrolled: 1-line block ×3, first 2 shown]
	v_sub_co_u32_e32 v4, vcc, v4, v14
	v_subb_co_u32_e32 v5, vcc, v15, v14, vcc
.LBB15_19:
	s_andn2_saveexec_b64 s[0:1], s[2:3]
	s_cbranch_execz .LBB15_21
; %bb.20:
	v_cvt_f32_u32_e32 v4, s16
	s_sub_i32 s2, 0, s16
	v_rcp_iflag_f32_e32 v4, v4
	v_mul_f32_e32 v4, 0x4f7ffffe, v4
	v_cvt_u32_f32_e32 v4, v4
	v_mul_lo_u32 v5, s2, v4
	v_mul_hi_u32 v5, v4, v5
	v_add_u32_e32 v4, v4, v5
	v_mul_hi_u32 v4, v10, v4
	v_mul_lo_u32 v5, v4, s16
	v_add_u32_e32 v14, 1, v4
	v_sub_u32_e32 v5, v10, v5
	v_subrev_u32_e32 v15, s16, v5
	v_cmp_le_u32_e32 vcc, s16, v5
	v_cndmask_b32_e32 v5, v5, v15, vcc
	v_cndmask_b32_e32 v4, v4, v14, vcc
	v_add_u32_e32 v14, 1, v4
	v_cmp_le_u32_e32 vcc, s16, v5
	v_cndmask_b32_e32 v4, v4, v14, vcc
	v_mov_b32_e32 v5, 0
.LBB15_21:
	s_or_b64 exec, exec, s[0:1]
	v_mul_lo_u32 v16, s17, v4
	v_mul_lo_u32 v17, s16, v5
	v_mad_u64_u32 v[14:15], s[0:1], s16, v4, 0
	v_add3_u32 v15, v15, v17, v16
	v_sub_co_u32_e32 v14, vcc, v10, v14
	v_subb_co_u32_e32 v15, vcc, v11, v15, vcc
	v_or_b32_e32 v11, s41, v15
	v_mov_b32_e32 v10, 0
	v_cmp_ne_u64_e32 vcc, 0, v[10:11]
                                        ; implicit-def: $vgpr10_vgpr11
	s_and_saveexec_b64 s[0:1], vcc
	s_xor_b64 s[2:3], exec, s[0:1]
	s_cbranch_execz .LBB15_23
; %bb.22:
	s_ashr_i32 s6, s41, 31
	s_add_u32 s0, s40, s6
	s_mov_b32 s7, s6
	s_addc_u32 s1, s41, s6
	s_xor_b64 s[12:13], s[0:1], s[6:7]
	v_cvt_f32_u32_e32 v10, s12
	v_cvt_f32_u32_e32 v11, s13
	s_sub_u32 s7, 0, s12
	s_subb_u32 s16, 0, s13
	v_ashrrev_i32_e32 v18, 31, v15
	v_madmk_f32 v10, v11, 0x4f800000, v10
	v_rcp_f32_e32 v10, v10
	v_mul_f32_e32 v10, 0x5f7ffffc, v10
	v_mul_f32_e32 v11, 0x2f800000, v10
	v_trunc_f32_e32 v11, v11
	v_madmk_f32 v10, v11, 0xcf800000, v10
	v_cvt_u32_f32_e32 v11, v11
	v_cvt_u32_f32_e32 v10, v10
	v_readfirstlane_b32 s17, v11
	v_readfirstlane_b32 s0, v10
	s_mul_i32 s1, s7, s17
	s_mul_hi_u32 s19, s7, s0
	s_mul_i32 s18, s16, s0
	s_add_i32 s1, s19, s1
	s_add_i32 s1, s1, s18
	s_mul_i32 s24, s7, s0
	s_mul_i32 s19, s0, s1
	s_mul_hi_u32 s25, s0, s24
	s_mul_hi_u32 s18, s0, s1
	s_add_u32 s19, s25, s19
	s_addc_u32 s18, 0, s18
	s_mul_hi_u32 s26, s17, s24
	s_mul_i32 s24, s17, s24
	s_add_u32 s19, s19, s24
	s_mul_hi_u32 s25, s17, s1
	s_addc_u32 s18, s18, s26
	s_addc_u32 s19, s25, 0
	s_mul_i32 s1, s17, s1
	s_add_u32 s1, s18, s1
	s_addc_u32 s18, 0, s19
	s_add_u32 s19, s0, s1
	s_cselect_b64 s[0:1], -1, 0
	s_cmp_lg_u64 s[0:1], 0
	s_addc_u32 s17, s17, s18
	s_mul_i32 s0, s7, s17
	s_mul_hi_u32 s1, s7, s19
	s_add_i32 s0, s1, s0
	s_mul_i32 s16, s16, s19
	s_add_i32 s0, s0, s16
	s_mul_i32 s7, s7, s19
	s_mul_hi_u32 s16, s17, s7
	s_mul_i32 s18, s17, s7
	s_mul_i32 s25, s19, s0
	s_mul_hi_u32 s7, s19, s7
	s_mul_hi_u32 s24, s19, s0
	s_add_u32 s7, s7, s25
	s_addc_u32 s24, 0, s24
	s_add_u32 s7, s7, s18
	s_mul_hi_u32 s1, s17, s0
	s_addc_u32 s7, s24, s16
	s_addc_u32 s1, s1, 0
	s_mul_i32 s0, s17, s0
	s_add_u32 s0, s7, s0
	s_addc_u32 s7, 0, s1
	s_add_u32 s16, s19, s0
	s_cselect_b64 s[0:1], -1, 0
	s_cmp_lg_u64 s[0:1], 0
	v_add_co_u32_e32 v10, vcc, v14, v18
	s_addc_u32 s7, s17, s7
	v_xor_b32_e32 v19, v10, v18
	v_mad_u64_u32 v[10:11], s[0:1], v19, s7, 0
	v_mul_hi_u32 v17, v19, s16
	v_addc_co_u32_e32 v16, vcc, v15, v18, vcc
	v_xor_b32_e32 v20, v16, v18
	v_add_co_u32_e32 v21, vcc, v17, v10
	v_addc_co_u32_e32 v22, vcc, 0, v11, vcc
	v_mad_u64_u32 v[10:11], s[0:1], v20, s16, 0
	v_mad_u64_u32 v[16:17], s[0:1], v20, s7, 0
	v_add_co_u32_e32 v10, vcc, v21, v10
	v_addc_co_u32_e32 v10, vcc, v22, v11, vcc
	v_addc_co_u32_e32 v11, vcc, 0, v17, vcc
	v_add_co_u32_e32 v16, vcc, v10, v16
	v_addc_co_u32_e32 v17, vcc, 0, v11, vcc
	v_mul_lo_u32 v21, s13, v16
	v_mul_lo_u32 v22, s12, v17
	v_mad_u64_u32 v[10:11], s[0:1], s12, v16, 0
	v_add3_u32 v11, v11, v22, v21
	v_sub_u32_e32 v21, v20, v11
	v_mov_b32_e32 v22, s13
	v_sub_co_u32_e32 v10, vcc, v19, v10
	v_subb_co_u32_e64 v19, s[0:1], v21, v22, vcc
	v_subrev_co_u32_e64 v21, s[0:1], s12, v10
	v_subbrev_co_u32_e64 v19, s[0:1], 0, v19, s[0:1]
	v_cmp_le_u32_e64 s[0:1], s13, v19
	v_cndmask_b32_e64 v22, 0, -1, s[0:1]
	v_cmp_le_u32_e64 s[0:1], s12, v21
	v_cndmask_b32_e64 v21, 0, -1, s[0:1]
	v_cmp_eq_u32_e64 s[0:1], s13, v19
	v_cndmask_b32_e64 v19, v22, v21, s[0:1]
	v_add_co_u32_e64 v21, s[0:1], 2, v16
	v_subb_co_u32_e32 v11, vcc, v20, v11, vcc
	v_addc_co_u32_e64 v22, s[0:1], 0, v17, s[0:1]
	v_cmp_le_u32_e32 vcc, s13, v11
	v_add_co_u32_e64 v23, s[0:1], 1, v16
	v_cndmask_b32_e64 v20, 0, -1, vcc
	v_cmp_le_u32_e32 vcc, s12, v10
	v_addc_co_u32_e64 v24, s[0:1], 0, v17, s[0:1]
	v_cndmask_b32_e64 v10, 0, -1, vcc
	v_cmp_eq_u32_e32 vcc, s13, v11
	v_cmp_ne_u32_e64 s[0:1], 0, v19
	v_cndmask_b32_e32 v10, v20, v10, vcc
	v_cndmask_b32_e64 v19, v24, v22, s[0:1]
	v_cmp_ne_u32_e32 vcc, 0, v10
	v_cndmask_b32_e64 v11, v23, v21, s[0:1]
	v_cndmask_b32_e32 v10, v17, v19, vcc
	v_cndmask_b32_e32 v11, v16, v11, vcc
	v_xor_b32_e32 v16, s6, v18
	v_xor_b32_e32 v17, v10, v16
	;; [unrolled: 1-line block ×3, first 2 shown]
	v_sub_co_u32_e32 v10, vcc, v10, v16
	v_subb_co_u32_e32 v11, vcc, v17, v16, vcc
.LBB15_23:
	s_andn2_saveexec_b64 s[0:1], s[2:3]
	s_cbranch_execz .LBB15_25
; %bb.24:
	v_cvt_f32_u32_e32 v10, s40
	s_sub_i32 s2, 0, s40
	v_rcp_iflag_f32_e32 v10, v10
	v_mul_f32_e32 v10, 0x4f7ffffe, v10
	v_cvt_u32_f32_e32 v10, v10
	v_mul_lo_u32 v11, s2, v10
	v_mul_hi_u32 v11, v10, v11
	v_add_u32_e32 v10, v10, v11
	v_mul_hi_u32 v10, v14, v10
	v_mul_lo_u32 v11, v10, s40
	v_add_u32_e32 v16, 1, v10
	v_sub_u32_e32 v11, v14, v11
	v_subrev_u32_e32 v17, s40, v11
	v_cmp_le_u32_e32 vcc, s40, v11
	v_cndmask_b32_e32 v11, v11, v17, vcc
	v_cndmask_b32_e32 v10, v10, v16, vcc
	v_add_u32_e32 v16, 1, v10
	v_cmp_le_u32_e32 vcc, s40, v11
	v_cndmask_b32_e32 v10, v10, v16, vcc
	v_mov_b32_e32 v11, 0
.LBB15_25:
	s_or_b64 exec, exec, s[0:1]
	v_mul_lo_u32 v18, v7, s14
	v_mul_lo_u32 v19, v6, s15
	v_mad_u64_u32 v[16:17], s[0:1], v6, s14, 0
	v_mul_lo_u32 v7, v7, s22
	v_mul_lo_u32 v3, v3, s36
	v_add3_u32 v17, v17, v19, v18
	v_sub_co_u32_e32 v16, vcc, v12, v16
	v_subb_co_u32_e32 v17, vcc, v13, v17, vcc
	v_mov_b32_e32 v12, s8
	v_mov_b32_e32 v13, s9
	v_mul_lo_u32 v18, v16, s21
	v_mul_lo_u32 v17, v17, s20
	v_mad_u64_u32 v[12:13], s[0:1], v16, s20, v[12:13]
	v_mul_lo_u32 v1, v1, s38
	v_mul_lo_u32 v5, v5, s50
	v_add3_u32 v13, v17, v13, v18
	v_mad_u64_u32 v[12:13], s[0:1], v6, s22, v[12:13]
	v_mul_lo_u32 v6, v6, s23
	v_add3_u32 v13, v7, v13, v6
	v_mad_u64_u32 v[6:7], s[0:1], v2, s36, v[12:13]
	v_mul_lo_u32 v2, v2, s37
	v_mul_lo_u32 v12, v10, s41
	v_add3_u32 v7, v3, v7, v2
	v_mad_u64_u32 v[2:3], s[0:1], v0, s38, v[6:7]
	v_mul_lo_u32 v0, v0, s39
	v_mul_lo_u32 v7, v11, s40
	v_add3_u32 v3, v1, v3, v0
	global_load_dword v6, v[2:3], off
	v_mad_u64_u32 v[0:1], s[0:1], v10, s40, 0
	v_mov_b32_e32 v2, s10
	v_mov_b32_e32 v3, s11
	v_add3_u32 v1, v1, v12, v7
	v_sub_co_u32_e32 v0, vcc, v14, v0
	v_subb_co_u32_e32 v7, vcc, v15, v1, vcc
	v_mul_lo_u32 v12, v0, s47
	v_mad_u64_u32 v[0:1], s[0:1], v0, s46, v[2:3]
	v_mul_lo_u32 v2, v7, s46
	v_mul_lo_u32 v3, v10, s49
	;; [unrolled: 1-line block ×3, first 2 shown]
	v_add3_u32 v1, v2, v1, v12
	v_mad_u64_u32 v[0:1], s[0:1], v10, s48, v[0:1]
	s_load_dwordx2 s[0:1], s[4:5], 0x80
	v_mul_lo_u32 v2, v4, s51
	v_add3_u32 v1, v7, v1, v3
	v_mad_u64_u32 v[0:1], s[2:3], v4, s50, v[0:1]
	s_waitcnt lgkmcnt(0)
	v_mul_lo_u32 v3, v8, s1
	v_mul_lo_u32 v4, v9, s0
	v_add3_u32 v1, v5, v1, v2
	v_mad_u64_u32 v[0:1], s[0:1], v8, s0, v[0:1]
	s_movk_i32 s0, 0x7fff
	v_add3_u32 v1, v4, v1, v3
	s_waitcnt vmcnt(0)
	v_bfe_u32 v2, v6, 16, 1
	v_or_b32_e32 v3, 0x400000, v6
	v_add3_u32 v2, v2, v6, s0
	v_cmp_u_f32_e32 vcc, v6, v6
	v_cndmask_b32_e32 v2, v2, v3, vcc
	global_store_short_d16_hi v[0:1], v2, off
.LBB15_26:
	s_endpgm
	.section	.rodata,"a",@progbits
	.p2align	6, 0x0
	.amdhsa_kernel _ZL10cpy_scalarIXadL_ZL12cpy_1_scalarIf14__hip_bfloat16EvPKcPcEEEvS3_S4_lllllllllllllll
		.amdhsa_group_segment_fixed_size 0
		.amdhsa_private_segment_fixed_size 0
		.amdhsa_kernarg_size 392
		.amdhsa_user_sgpr_count 6
		.amdhsa_user_sgpr_private_segment_buffer 1
		.amdhsa_user_sgpr_dispatch_ptr 0
		.amdhsa_user_sgpr_queue_ptr 0
		.amdhsa_user_sgpr_kernarg_segment_ptr 1
		.amdhsa_user_sgpr_dispatch_id 0
		.amdhsa_user_sgpr_flat_scratch_init 0
		.amdhsa_user_sgpr_private_segment_size 0
		.amdhsa_uses_dynamic_stack 0
		.amdhsa_system_sgpr_private_segment_wavefront_offset 0
		.amdhsa_system_sgpr_workgroup_id_x 1
		.amdhsa_system_sgpr_workgroup_id_y 0
		.amdhsa_system_sgpr_workgroup_id_z 0
		.amdhsa_system_sgpr_workgroup_info 0
		.amdhsa_system_vgpr_workitem_id 0
		.amdhsa_next_free_vgpr 25
		.amdhsa_next_free_sgpr 52
		.amdhsa_reserve_vcc 1
		.amdhsa_reserve_flat_scratch 0
		.amdhsa_float_round_mode_32 0
		.amdhsa_float_round_mode_16_64 0
		.amdhsa_float_denorm_mode_32 3
		.amdhsa_float_denorm_mode_16_64 3
		.amdhsa_dx10_clamp 1
		.amdhsa_ieee_mode 1
		.amdhsa_fp16_overflow 0
		.amdhsa_exception_fp_ieee_invalid_op 0
		.amdhsa_exception_fp_denorm_src 0
		.amdhsa_exception_fp_ieee_div_zero 0
		.amdhsa_exception_fp_ieee_overflow 0
		.amdhsa_exception_fp_ieee_underflow 0
		.amdhsa_exception_fp_ieee_inexact 0
		.amdhsa_exception_int_div_zero 0
	.end_amdhsa_kernel
	.section	.text._ZL10cpy_scalarIXadL_ZL12cpy_1_scalarIf14__hip_bfloat16EvPKcPcEEEvS3_S4_lllllllllllllll,"axG",@progbits,_ZL10cpy_scalarIXadL_ZL12cpy_1_scalarIf14__hip_bfloat16EvPKcPcEEEvS3_S4_lllllllllllllll,comdat
.Lfunc_end15:
	.size	_ZL10cpy_scalarIXadL_ZL12cpy_1_scalarIf14__hip_bfloat16EvPKcPcEEEvS3_S4_lllllllllllllll, .Lfunc_end15-_ZL10cpy_scalarIXadL_ZL12cpy_1_scalarIf14__hip_bfloat16EvPKcPcEEEvS3_S4_lllllllllllllll
                                        ; -- End function
	.set _ZL10cpy_scalarIXadL_ZL12cpy_1_scalarIf14__hip_bfloat16EvPKcPcEEEvS3_S4_lllllllllllllll.num_vgpr, 25
	.set _ZL10cpy_scalarIXadL_ZL12cpy_1_scalarIf14__hip_bfloat16EvPKcPcEEEvS3_S4_lllllllllllllll.num_agpr, 0
	.set _ZL10cpy_scalarIXadL_ZL12cpy_1_scalarIf14__hip_bfloat16EvPKcPcEEEvS3_S4_lllllllllllllll.numbered_sgpr, 52
	.set _ZL10cpy_scalarIXadL_ZL12cpy_1_scalarIf14__hip_bfloat16EvPKcPcEEEvS3_S4_lllllllllllllll.num_named_barrier, 0
	.set _ZL10cpy_scalarIXadL_ZL12cpy_1_scalarIf14__hip_bfloat16EvPKcPcEEEvS3_S4_lllllllllllllll.private_seg_size, 0
	.set _ZL10cpy_scalarIXadL_ZL12cpy_1_scalarIf14__hip_bfloat16EvPKcPcEEEvS3_S4_lllllllllllllll.uses_vcc, 1
	.set _ZL10cpy_scalarIXadL_ZL12cpy_1_scalarIf14__hip_bfloat16EvPKcPcEEEvS3_S4_lllllllllllllll.uses_flat_scratch, 0
	.set _ZL10cpy_scalarIXadL_ZL12cpy_1_scalarIf14__hip_bfloat16EvPKcPcEEEvS3_S4_lllllllllllllll.has_dyn_sized_stack, 0
	.set _ZL10cpy_scalarIXadL_ZL12cpy_1_scalarIf14__hip_bfloat16EvPKcPcEEEvS3_S4_lllllllllllllll.has_recursion, 0
	.set _ZL10cpy_scalarIXadL_ZL12cpy_1_scalarIf14__hip_bfloat16EvPKcPcEEEvS3_S4_lllllllllllllll.has_indirect_call, 0
	.section	.AMDGPU.csdata,"",@progbits
; Kernel info:
; codeLenInByte = 5232
; TotalNumSgprs: 56
; NumVgprs: 25
; ScratchSize: 0
; MemoryBound: 0
; FloatMode: 240
; IeeeMode: 1
; LDSByteSize: 0 bytes/workgroup (compile time only)
; SGPRBlocks: 6
; VGPRBlocks: 6
; NumSGPRsForWavesPerEU: 56
; NumVGPRsForWavesPerEU: 25
; Occupancy: 9
; WaveLimiterHint : 0
; COMPUTE_PGM_RSRC2:SCRATCH_EN: 0
; COMPUTE_PGM_RSRC2:USER_SGPR: 6
; COMPUTE_PGM_RSRC2:TRAP_HANDLER: 0
; COMPUTE_PGM_RSRC2:TGID_X_EN: 1
; COMPUTE_PGM_RSRC2:TGID_Y_EN: 0
; COMPUTE_PGM_RSRC2:TGID_Z_EN: 0
; COMPUTE_PGM_RSRC2:TIDIG_COMP_CNT: 0
	.section	.text._ZL21cpy_scalar_contiguousIf6__halfEvPKcPcl,"axG",@progbits,_ZL21cpy_scalar_contiguousIf6__halfEvPKcPcl,comdat
	.globl	_ZL21cpy_scalar_contiguousIf6__halfEvPKcPcl ; -- Begin function _ZL21cpy_scalar_contiguousIf6__halfEvPKcPcl
	.p2align	8
	.type	_ZL21cpy_scalar_contiguousIf6__halfEvPKcPcl,@function
_ZL21cpy_scalar_contiguousIf6__halfEvPKcPcl: ; @_ZL21cpy_scalar_contiguousIf6__halfEvPKcPcl
; %bb.0:
	s_load_dword s2, s[4:5], 0x24
	s_load_dwordx2 s[0:1], s[4:5], 0x10
	v_mov_b32_e32 v1, 0
	v_mov_b32_e32 v2, s6
	s_waitcnt lgkmcnt(0)
	s_and_b32 s2, s2, 0xffff
	v_mad_u64_u32 v[0:1], s[2:3], s2, v2, v[0:1]
	v_cmp_gt_i64_e32 vcc, s[0:1], v[0:1]
	s_and_saveexec_b64 s[0:1], vcc
	s_cbranch_execz .LBB16_2
; %bb.1:
	s_load_dwordx4 s[0:3], s[4:5], 0x0
	v_lshlrev_b64 v[2:3], 2, v[0:1]
	v_lshlrev_b64 v[0:1], 1, v[0:1]
	s_waitcnt lgkmcnt(0)
	v_mov_b32_e32 v4, s1
	v_add_co_u32_e32 v2, vcc, s0, v2
	v_addc_co_u32_e32 v3, vcc, v4, v3, vcc
	global_load_dword v2, v[2:3], off
	v_mov_b32_e32 v3, s3
	v_add_co_u32_e32 v0, vcc, s2, v0
	v_addc_co_u32_e32 v1, vcc, v3, v1, vcc
	s_waitcnt vmcnt(0)
	v_cvt_f16_f32_e32 v2, v2
	global_store_short v[0:1], v2, off
.LBB16_2:
	s_endpgm
	.section	.rodata,"a",@progbits
	.p2align	6, 0x0
	.amdhsa_kernel _ZL21cpy_scalar_contiguousIf6__halfEvPKcPcl
		.amdhsa_group_segment_fixed_size 0
		.amdhsa_private_segment_fixed_size 0
		.amdhsa_kernarg_size 280
		.amdhsa_user_sgpr_count 6
		.amdhsa_user_sgpr_private_segment_buffer 1
		.amdhsa_user_sgpr_dispatch_ptr 0
		.amdhsa_user_sgpr_queue_ptr 0
		.amdhsa_user_sgpr_kernarg_segment_ptr 1
		.amdhsa_user_sgpr_dispatch_id 0
		.amdhsa_user_sgpr_flat_scratch_init 0
		.amdhsa_user_sgpr_private_segment_size 0
		.amdhsa_uses_dynamic_stack 0
		.amdhsa_system_sgpr_private_segment_wavefront_offset 0
		.amdhsa_system_sgpr_workgroup_id_x 1
		.amdhsa_system_sgpr_workgroup_id_y 0
		.amdhsa_system_sgpr_workgroup_id_z 0
		.amdhsa_system_sgpr_workgroup_info 0
		.amdhsa_system_vgpr_workitem_id 0
		.amdhsa_next_free_vgpr 5
		.amdhsa_next_free_sgpr 7
		.amdhsa_reserve_vcc 1
		.amdhsa_reserve_flat_scratch 0
		.amdhsa_float_round_mode_32 0
		.amdhsa_float_round_mode_16_64 0
		.amdhsa_float_denorm_mode_32 3
		.amdhsa_float_denorm_mode_16_64 3
		.amdhsa_dx10_clamp 1
		.amdhsa_ieee_mode 1
		.amdhsa_fp16_overflow 0
		.amdhsa_exception_fp_ieee_invalid_op 0
		.amdhsa_exception_fp_denorm_src 0
		.amdhsa_exception_fp_ieee_div_zero 0
		.amdhsa_exception_fp_ieee_overflow 0
		.amdhsa_exception_fp_ieee_underflow 0
		.amdhsa_exception_fp_ieee_inexact 0
		.amdhsa_exception_int_div_zero 0
	.end_amdhsa_kernel
	.section	.text._ZL21cpy_scalar_contiguousIf6__halfEvPKcPcl,"axG",@progbits,_ZL21cpy_scalar_contiguousIf6__halfEvPKcPcl,comdat
.Lfunc_end16:
	.size	_ZL21cpy_scalar_contiguousIf6__halfEvPKcPcl, .Lfunc_end16-_ZL21cpy_scalar_contiguousIf6__halfEvPKcPcl
                                        ; -- End function
	.set _ZL21cpy_scalar_contiguousIf6__halfEvPKcPcl.num_vgpr, 5
	.set _ZL21cpy_scalar_contiguousIf6__halfEvPKcPcl.num_agpr, 0
	.set _ZL21cpy_scalar_contiguousIf6__halfEvPKcPcl.numbered_sgpr, 7
	.set _ZL21cpy_scalar_contiguousIf6__halfEvPKcPcl.num_named_barrier, 0
	.set _ZL21cpy_scalar_contiguousIf6__halfEvPKcPcl.private_seg_size, 0
	.set _ZL21cpy_scalar_contiguousIf6__halfEvPKcPcl.uses_vcc, 1
	.set _ZL21cpy_scalar_contiguousIf6__halfEvPKcPcl.uses_flat_scratch, 0
	.set _ZL21cpy_scalar_contiguousIf6__halfEvPKcPcl.has_dyn_sized_stack, 0
	.set _ZL21cpy_scalar_contiguousIf6__halfEvPKcPcl.has_recursion, 0
	.set _ZL21cpy_scalar_contiguousIf6__halfEvPKcPcl.has_indirect_call, 0
	.section	.AMDGPU.csdata,"",@progbits
; Kernel info:
; codeLenInByte = 136
; TotalNumSgprs: 11
; NumVgprs: 5
; ScratchSize: 0
; MemoryBound: 0
; FloatMode: 240
; IeeeMode: 1
; LDSByteSize: 0 bytes/workgroup (compile time only)
; SGPRBlocks: 1
; VGPRBlocks: 1
; NumSGPRsForWavesPerEU: 11
; NumVGPRsForWavesPerEU: 5
; Occupancy: 10
; WaveLimiterHint : 0
; COMPUTE_PGM_RSRC2:SCRATCH_EN: 0
; COMPUTE_PGM_RSRC2:USER_SGPR: 6
; COMPUTE_PGM_RSRC2:TRAP_HANDLER: 0
; COMPUTE_PGM_RSRC2:TGID_X_EN: 1
; COMPUTE_PGM_RSRC2:TGID_Y_EN: 0
; COMPUTE_PGM_RSRC2:TGID_Z_EN: 0
; COMPUTE_PGM_RSRC2:TIDIG_COMP_CNT: 0
	.section	.text._ZL20cpy_scalar_transposeI6__halfEvPKcPclllllllllllllll,"axG",@progbits,_ZL20cpy_scalar_transposeI6__halfEvPKcPclllllllllllllll,comdat
	.globl	_ZL20cpy_scalar_transposeI6__halfEvPKcPclllllllllllllll ; -- Begin function _ZL20cpy_scalar_transposeI6__halfEvPKcPclllllllllllllll
	.p2align	8
	.type	_ZL20cpy_scalar_transposeI6__halfEvPKcPclllllllllllllll,@function
_ZL20cpy_scalar_transposeI6__halfEvPKcPclllllllllllllll: ; @_ZL20cpy_scalar_transposeI6__halfEvPKcPclllllllllllllll
; %bb.0:
	s_load_dwordx8 s[12:19], s[4:5], 0x0
	s_load_dwordx2 s[10:11], s[4:5], 0x20
	s_waitcnt lgkmcnt(0)
	s_mul_i32 s0, s10, s19
	s_mul_hi_u32 s1, s10, s18
	s_add_i32 s0, s1, s0
	s_mul_i32 s1, s11, s18
	s_add_i32 s21, s0, s1
	s_mul_i32 s20, s10, s18
	s_or_b64 s[0:1], s[16:17], s[20:21]
	s_mov_b32 s0, 0
	s_cmp_lg_u64 s[0:1], 0
	s_cbranch_scc0 .LBB17_127
; %bb.1:
	s_ashr_i32 s0, s21, 31
	s_add_u32 s2, s20, s0
	s_mov_b32 s1, s0
	s_addc_u32 s3, s21, s0
	s_xor_b64 s[4:5], s[2:3], s[0:1]
	v_cvt_f32_u32_e32 v2, s4
	v_cvt_f32_u32_e32 v3, s5
	s_sub_u32 s9, 0, s4
	s_subb_u32 s24, 0, s5
	v_madmk_f32 v2, v3, 0x4f800000, v2
	v_rcp_f32_e32 v2, v2
	v_mul_f32_e32 v2, 0x5f7ffffc, v2
	v_mul_f32_e32 v3, 0x2f800000, v2
	v_trunc_f32_e32 v3, v3
	v_madmk_f32 v2, v3, 0xcf800000, v2
	v_cvt_u32_f32_e32 v3, v3
	v_cvt_u32_f32_e32 v2, v2
	v_readfirstlane_b32 s25, v3
	v_readfirstlane_b32 s22, v2
	s_mul_i32 s23, s9, s25
	s_mul_hi_u32 s27, s9, s22
	s_mul_i32 s26, s24, s22
	s_add_i32 s23, s27, s23
	s_add_i32 s23, s23, s26
	s_mul_i32 s28, s9, s22
	s_mul_i32 s27, s22, s23
	s_mul_hi_u32 s29, s22, s28
	s_mul_hi_u32 s26, s22, s23
	s_add_u32 s27, s29, s27
	s_addc_u32 s26, 0, s26
	s_mul_hi_u32 s30, s25, s28
	s_mul_i32 s28, s25, s28
	s_add_u32 s27, s27, s28
	s_mul_hi_u32 s29, s25, s23
	s_addc_u32 s26, s26, s30
	s_addc_u32 s27, s29, 0
	s_mul_i32 s23, s25, s23
	s_add_u32 s23, s26, s23
	s_addc_u32 s26, 0, s27
	s_add_u32 s27, s22, s23
	s_cselect_b64 s[22:23], -1, 0
	s_cmp_lg_u64 s[22:23], 0
	s_addc_u32 s25, s25, s26
	s_mul_i32 s22, s9, s25
	s_mul_hi_u32 s23, s9, s27
	s_add_i32 s22, s23, s22
	s_mul_i32 s24, s24, s27
	s_add_i32 s22, s22, s24
	s_mul_i32 s9, s9, s27
	s_mul_hi_u32 s24, s25, s9
	s_mul_i32 s26, s25, s9
	s_mul_i32 s29, s27, s22
	s_mul_hi_u32 s9, s27, s9
	s_mul_hi_u32 s28, s27, s22
	s_add_u32 s9, s9, s29
	s_addc_u32 s28, 0, s28
	s_add_u32 s9, s9, s26
	s_mul_hi_u32 s23, s25, s22
	s_addc_u32 s9, s28, s24
	s_addc_u32 s23, s23, 0
	s_mul_i32 s22, s25, s22
	s_add_u32 s9, s9, s22
	s_addc_u32 s24, 0, s23
	s_add_u32 s9, s27, s9
	s_cselect_b64 s[22:23], -1, 0
	s_cmp_lg_u64 s[22:23], 0
	s_addc_u32 s26, s25, s24
	s_ashr_i32 s22, s17, 31
	s_add_u32 s24, s16, s22
	s_mov_b32 s23, s22
	s_addc_u32 s25, s17, s22
	s_xor_b64 s[24:25], s[24:25], s[22:23]
	s_mul_i32 s27, s24, s26
	s_mul_hi_u32 s28, s24, s9
	s_mul_hi_u32 s17, s24, s26
	s_add_u32 s27, s28, s27
	s_addc_u32 s17, 0, s17
	s_mul_hi_u32 s29, s25, s9
	s_mul_i32 s9, s25, s9
	s_add_u32 s9, s27, s9
	s_mul_hi_u32 s28, s25, s26
	s_addc_u32 s9, s17, s29
	s_addc_u32 s17, s28, 0
	s_mul_i32 s26, s25, s26
	s_add_u32 s9, s9, s26
	s_addc_u32 s17, 0, s17
	s_mul_i32 s26, s4, s17
	s_mul_hi_u32 s27, s4, s9
	s_add_i32 s26, s27, s26
	s_mul_i32 s27, s5, s9
	s_add_i32 s30, s26, s27
	s_sub_i32 s28, s25, s30
	s_mul_i32 s26, s4, s9
	s_sub_u32 s24, s24, s26
	s_cselect_b64 s[26:27], -1, 0
	s_cmp_lg_u64 s[26:27], 0
	s_subb_u32 s31, s28, s5
	s_sub_u32 s33, s24, s4
	s_cselect_b64 s[28:29], -1, 0
	s_cmp_lg_u64 s[28:29], 0
	s_subb_u32 s28, s31, 0
	s_cmp_ge_u32 s28, s5
	s_cselect_b32 s29, -1, 0
	s_cmp_ge_u32 s33, s4
	s_cselect_b32 s31, -1, 0
	s_cmp_eq_u32 s28, s5
	s_cselect_b32 s28, s31, s29
	s_add_u32 s29, s9, 1
	s_addc_u32 s31, s17, 0
	s_add_u32 s33, s9, 2
	s_addc_u32 s34, s17, 0
	s_cmp_lg_u32 s28, 0
	s_cselect_b32 s28, s33, s29
	s_cselect_b32 s29, s34, s31
	s_cmp_lg_u64 s[26:27], 0
	s_subb_u32 s25, s25, s30
	s_cmp_ge_u32 s25, s5
	s_cselect_b32 s26, -1, 0
	s_cmp_ge_u32 s24, s4
	s_cselect_b32 s4, -1, 0
	s_cmp_eq_u32 s25, s5
	s_cselect_b32 s4, s4, s26
	s_cmp_lg_u32 s4, 0
	s_cselect_b32 s5, s29, s17
	s_cselect_b32 s4, s28, s9
	s_xor_b64 s[0:1], s[22:23], s[0:1]
	s_xor_b64 s[4:5], s[4:5], s[0:1]
	s_sub_u32 s22, s4, s0
	s_subb_u32 s23, s5, s1
	s_cbranch_execnz .LBB17_3
.LBB17_2:
	v_cvt_f32_u32_e32 v2, s20
	s_sub_i32 s0, 0, s20
	s_mov_b32 s23, 0
	v_rcp_iflag_f32_e32 v2, v2
	v_mul_f32_e32 v2, 0x4f7ffffe, v2
	v_cvt_u32_f32_e32 v2, v2
	v_readfirstlane_b32 s1, v2
	s_mul_i32 s0, s0, s1
	s_mul_hi_u32 s0, s1, s0
	s_add_i32 s1, s1, s0
	s_mul_hi_u32 s0, s16, s1
	s_mul_i32 s2, s0, s20
	s_sub_i32 s2, s16, s2
	s_add_i32 s1, s0, 1
	s_sub_i32 s3, s2, s20
	s_cmp_ge_u32 s2, s20
	s_cselect_b32 s0, s1, s0
	s_cselect_b32 s2, s3, s2
	s_add_i32 s1, s0, 1
	s_cmp_ge_u32 s2, s20
	s_cselect_b32 s22, s1, s0
.LBB17_3:
	s_lshl_b32 s8, s8, 3
	s_mov_b32 s9, 0
	v_mov_b32_e32 v2, s8
	v_mov_b32_e32 v3, s9
	v_cmp_le_i64_e32 vcc, s[22:23], v[2:3]
	s_cbranch_vccnz .LBB17_126
; %bb.4:
	s_lshl_b32 s9, s6, 5
	v_add_u32_e32 v3, s9, v0
	v_ashrrev_i32_e32 v4, 31, v3
	v_cmp_gt_i64_e64 s[0:1], s[10:11], v[3:4]
	v_lshlrev_b64 v[3:4], 1, v[3:4]
	s_lshl_b32 s16, s7, 5
	v_mov_b32_e32 v5, s13
	v_add_co_u32_e32 v15, vcc, s12, v3
	s_mul_i32 s2, s21, s8
	s_mul_hi_u32 s3, s20, s8
	v_add_u32_e32 v2, s16, v1
	v_mul_u32_u24_e32 v13, 0x84, v1
	v_addc_co_u32_e32 v16, vcc, v5, v4, vcc
	v_lshlrev_b32_e32 v14, 2, v0
	s_add_i32 s7, s3, s2
	s_mul_i32 s6, s20, s8
	s_and_saveexec_b64 s[4:5], s[0:1]
	s_cbranch_execz .LBB17_13
; %bb.5:
	s_lshl_b64 s[2:3], s[6:7], 1
	v_ashrrev_i32_e32 v3, 31, v2
	v_mov_b32_e32 v4, s3
	v_cmp_gt_i64_e32 vcc, s[18:19], v[2:3]
	v_add_co_u32_e64 v5, s[2:3], s2, v15
	v_addc_co_u32_e64 v6, s[2:3], v16, v4, s[2:3]
	s_and_saveexec_b64 s[2:3], vcc
	s_cbranch_execz .LBB17_7
; %bb.6:
	v_mul_lo_u32 v7, s11, v2
	v_mul_lo_u32 v8, s10, v3
	v_mad_u64_u32 v[3:4], s[12:13], s10, v2, 0
	v_add3_u32 v4, v4, v8, v7
	v_lshlrev_b64 v[3:4], 1, v[3:4]
	v_add_co_u32_e32 v3, vcc, v5, v3
	v_addc_co_u32_e32 v4, vcc, v6, v4, vcc
	global_load_ushort v3, v[3:4], off
	v_add_u32_e32 v4, v13, v14
	s_waitcnt vmcnt(0)
	ds_write_b16 v4, v3
.LBB17_7:
	s_or_b64 exec, exec, s[2:3]
	v_add_u32_e32 v3, 8, v2
	v_ashrrev_i32_e32 v4, 31, v3
	v_cmp_gt_i64_e32 vcc, s[18:19], v[3:4]
	s_and_saveexec_b64 s[2:3], vcc
	s_cbranch_execz .LBB17_9
; %bb.8:
	v_mul_lo_u32 v7, s11, v3
	v_mul_lo_u32 v8, s10, v4
	v_mad_u64_u32 v[3:4], s[12:13], s10, v3, 0
	v_add3_u32 v4, v4, v8, v7
	v_lshlrev_b64 v[3:4], 1, v[3:4]
	v_add_co_u32_e32 v3, vcc, v5, v3
	v_addc_co_u32_e32 v4, vcc, v6, v4, vcc
	global_load_ushort v3, v[3:4], off
	v_add_u32_e32 v4, v13, v14
	s_waitcnt vmcnt(0)
	ds_write_b16 v4, v3 offset:1056
.LBB17_9:
	s_or_b64 exec, exec, s[2:3]
	v_add_u32_e32 v3, 16, v2
	v_ashrrev_i32_e32 v4, 31, v3
	v_cmp_gt_i64_e32 vcc, s[18:19], v[3:4]
	s_and_saveexec_b64 s[2:3], vcc
	s_cbranch_execz .LBB17_11
; %bb.10:
	v_mul_lo_u32 v7, s11, v3
	v_mul_lo_u32 v8, s10, v4
	v_mad_u64_u32 v[3:4], s[12:13], s10, v3, 0
	v_add3_u32 v4, v4, v8, v7
	v_lshlrev_b64 v[3:4], 1, v[3:4]
	v_add_co_u32_e32 v3, vcc, v5, v3
	v_addc_co_u32_e32 v4, vcc, v6, v4, vcc
	global_load_ushort v3, v[3:4], off
	v_add_u32_e32 v4, v13, v14
	s_waitcnt vmcnt(0)
	ds_write_b16 v4, v3 offset:2112
.LBB17_11:
	s_or_b64 exec, exec, s[2:3]
	v_add_u32_e32 v3, 24, v2
	v_ashrrev_i32_e32 v4, 31, v3
	v_cmp_gt_i64_e32 vcc, s[18:19], v[3:4]
	s_and_b64 exec, exec, vcc
	s_cbranch_execz .LBB17_13
; %bb.12:
	v_mul_lo_u32 v7, s11, v3
	v_mul_lo_u32 v8, s10, v4
	v_mad_u64_u32 v[3:4], s[2:3], s10, v3, 0
	v_add3_u32 v4, v4, v8, v7
	v_lshlrev_b64 v[3:4], 1, v[3:4]
	v_add_co_u32_e32 v3, vcc, v5, v3
	v_addc_co_u32_e32 v4, vcc, v6, v4, vcc
	global_load_ushort v3, v[3:4], off
	v_add_u32_e32 v4, v13, v14
	s_waitcnt vmcnt(0)
	ds_write_b16 v4, v3 offset:3168
.LBB17_13:
	s_or_b64 exec, exec, s[4:5]
	v_add_u32_e32 v5, s16, v0
	v_ashrrev_i32_e32 v6, 31, v5
	v_cmp_le_i64_e32 vcc, s[18:19], v[5:6]
	v_cmp_gt_i64_e64 s[2:3], s[18:19], v[5:6]
	v_lshlrev_b64 v[5:6], 1, v[5:6]
	v_add_u32_e32 v4, s9, v1
	v_mov_b32_e32 v3, s15
	v_add_co_u32_e64 v17, s[4:5], s14, v5
	v_addc_co_u32_e64 v18, s[4:5], v3, v6, s[4:5]
	v_ashrrev_i32_e32 v5, 31, v4
	s_lshl_b64 s[6:7], s[6:7], 1
	v_cmp_gt_i64_e64 s[4:5], s[10:11], v[4:5]
	v_mul_u32_u24_e32 v0, 0x84, v0
	v_mov_b32_e32 v6, s7
	v_add_co_u32_e64 v3, s[6:7], s6, v17
	v_addc_co_u32_e64 v10, s[6:7], v18, v6, s[6:7]
	s_and_b64 s[4:5], s[4:5], s[2:3]
	v_lshl_add_u32 v12, v1, 2, v0
	s_waitcnt lgkmcnt(0)
	s_barrier
	s_and_saveexec_b64 s[6:7], s[4:5]
	s_cbranch_execz .LBB17_15
; %bb.14:
	v_mul_lo_u32 v6, s19, v4
	v_mul_lo_u32 v7, s18, v5
	v_mad_u64_u32 v[0:1], s[2:3], s18, v4, 0
	v_add3_u32 v1, v1, v7, v6
	ds_read_u16 v6, v12
	v_lshlrev_b64 v[0:1], 1, v[0:1]
	v_add_co_u32_e64 v0, s[2:3], v3, v0
	v_addc_co_u32_e64 v1, s[2:3], v10, v1, s[2:3]
	s_waitcnt lgkmcnt(0)
	global_store_short v[0:1], v6, off
.LBB17_15:
	s_or_b64 exec, exec, s[6:7]
	v_add_u32_e32 v0, 8, v4
	v_ashrrev_i32_e32 v1, 31, v0
	v_cmp_gt_i64_e64 s[2:3], s[10:11], v[0:1]
	s_xor_b64 s[14:15], vcc, -1
	s_and_b64 s[6:7], s[2:3], s[14:15]
	s_and_saveexec_b64 s[2:3], s[6:7]
	s_cbranch_execz .LBB17_17
; %bb.16:
	v_mul_lo_u32 v8, s19, v0
	v_mul_lo_u32 v9, s18, v1
	v_mad_u64_u32 v[6:7], s[12:13], s18, v0, 0
	v_add3_u32 v7, v7, v9, v8
	ds_read_u16 v8, v12 offset:32
	v_lshlrev_b64 v[6:7], 1, v[6:7]
	v_add_co_u32_e32 v6, vcc, v3, v6
	v_addc_co_u32_e32 v7, vcc, v10, v7, vcc
	s_waitcnt lgkmcnt(0)
	global_store_short v[6:7], v8, off
.LBB17_17:
	s_or_b64 exec, exec, s[2:3]
	v_add_u32_e32 v6, 16, v4
	v_ashrrev_i32_e32 v7, 31, v6
	v_cmp_gt_i64_e32 vcc, s[10:11], v[6:7]
	s_and_b64 s[12:13], vcc, s[14:15]
	s_and_saveexec_b64 s[2:3], s[12:13]
	s_cbranch_execz .LBB17_19
; %bb.18:
	v_mul_lo_u32 v11, s19, v6
	v_mul_lo_u32 v19, s18, v7
	v_mad_u64_u32 v[8:9], s[16:17], s18, v6, 0
	v_add3_u32 v9, v9, v19, v11
	ds_read_u16 v11, v12 offset:64
	v_lshlrev_b64 v[8:9], 1, v[8:9]
	v_add_co_u32_e32 v8, vcc, v3, v8
	v_addc_co_u32_e32 v9, vcc, v10, v9, vcc
	s_waitcnt lgkmcnt(0)
	global_store_short v[8:9], v11, off
.LBB17_19:
	s_or_b64 exec, exec, s[2:3]
	v_add_u32_e32 v8, 24, v4
	v_ashrrev_i32_e32 v9, 31, v8
	v_cmp_gt_i64_e32 vcc, s[10:11], v[8:9]
	s_and_b64 s[14:15], vcc, s[14:15]
	s_and_saveexec_b64 s[2:3], s[14:15]
	s_cbranch_execz .LBB17_21
; %bb.20:
	v_mul_lo_u32 v11, s19, v8
	v_mul_lo_u32 v21, s18, v9
	v_mad_u64_u32 v[19:20], s[16:17], s18, v8, 0
	v_add3_u32 v20, v20, v21, v11
	ds_read_u16 v11, v12 offset:96
	v_lshlrev_b64 v[19:20], 1, v[19:20]
	v_add_co_u32_e32 v19, vcc, v3, v19
	v_addc_co_u32_e32 v20, vcc, v10, v20, vcc
	s_waitcnt lgkmcnt(0)
	global_store_short v[19:20], v11, off
.LBB17_21:
	s_or_b64 exec, exec, s[2:3]
	s_mov_b32 s3, 0
	s_or_b32 s2, s8, 1
	v_mov_b32_e32 v11, s3
	v_mov_b32_e32 v10, s2
	v_cmp_le_u64_e32 vcc, s[22:23], v[10:11]
	s_cbranch_vccnz .LBB17_126
; %bb.22:
	s_mul_i32 s3, s21, s2
	s_mul_hi_u32 s9, s20, s2
	s_add_i32 s17, s9, s3
	s_mul_i32 s16, s20, s2
	s_and_saveexec_b64 s[24:25], s[0:1]
	s_cbranch_execz .LBB17_31
; %bb.23:
	s_lshl_b64 s[2:3], s[16:17], 1
	v_ashrrev_i32_e32 v3, 31, v2
	v_mov_b32_e32 v10, s3
	v_cmp_gt_i64_e32 vcc, s[18:19], v[2:3]
	v_add_co_u32_e64 v19, s[2:3], s2, v15
	v_addc_co_u32_e64 v20, s[2:3], v16, v10, s[2:3]
	s_and_saveexec_b64 s[2:3], vcc
	s_cbranch_execz .LBB17_25
; %bb.24:
	v_mul_lo_u32 v21, s11, v2
	v_mul_lo_u32 v3, s10, v3
	v_mad_u64_u32 v[10:11], s[26:27], s10, v2, 0
	v_add3_u32 v11, v11, v3, v21
	v_lshlrev_b64 v[10:11], 1, v[10:11]
	v_add_co_u32_e32 v10, vcc, v19, v10
	v_addc_co_u32_e32 v11, vcc, v20, v11, vcc
	global_load_ushort v3, v[10:11], off
	v_add_u32_e32 v10, v13, v14
	s_waitcnt vmcnt(0)
	ds_write_b16 v10, v3 offset:4224
.LBB17_25:
	s_or_b64 exec, exec, s[2:3]
	v_add_u32_e32 v10, 8, v2
	v_ashrrev_i32_e32 v11, 31, v10
	v_cmp_gt_i64_e32 vcc, s[18:19], v[10:11]
	s_and_saveexec_b64 s[2:3], vcc
	s_cbranch_execz .LBB17_27
; %bb.26:
	v_mul_lo_u32 v3, s11, v10
	v_mul_lo_u32 v21, s10, v11
	v_mad_u64_u32 v[10:11], s[26:27], s10, v10, 0
	v_add3_u32 v11, v11, v21, v3
	v_lshlrev_b64 v[10:11], 1, v[10:11]
	v_add_co_u32_e32 v10, vcc, v19, v10
	v_addc_co_u32_e32 v11, vcc, v20, v11, vcc
	global_load_ushort v3, v[10:11], off
	v_add_u32_e32 v10, v13, v14
	s_waitcnt vmcnt(0)
	ds_write_b16 v10, v3 offset:5280
.LBB17_27:
	s_or_b64 exec, exec, s[2:3]
	v_add_u32_e32 v10, 16, v2
	v_ashrrev_i32_e32 v11, 31, v10
	v_cmp_gt_i64_e32 vcc, s[18:19], v[10:11]
	;; [unrolled: 19-line block ×3, first 2 shown]
	s_and_b64 exec, exec, vcc
	s_cbranch_execz .LBB17_31
; %bb.30:
	v_mul_lo_u32 v3, s11, v10
	v_mul_lo_u32 v21, s10, v11
	v_mad_u64_u32 v[10:11], s[2:3], s10, v10, 0
	v_add3_u32 v11, v11, v21, v3
	v_lshlrev_b64 v[10:11], 1, v[10:11]
	v_add_co_u32_e32 v10, vcc, v19, v10
	v_addc_co_u32_e32 v11, vcc, v20, v11, vcc
	global_load_ushort v3, v[10:11], off
	v_add_u32_e32 v10, v13, v14
	s_waitcnt vmcnt(0)
	ds_write_b16 v10, v3 offset:7392
.LBB17_31:
	s_or_b64 exec, exec, s[24:25]
	s_lshl_b64 s[2:3], s[16:17], 1
	v_mov_b32_e32 v10, s3
	v_add_co_u32_e32 v3, vcc, s2, v17
	v_addc_co_u32_e32 v10, vcc, v18, v10, vcc
	s_waitcnt vmcnt(0) lgkmcnt(0)
	s_barrier
	s_and_saveexec_b64 s[2:3], s[4:5]
	s_cbranch_execnz .LBB17_128
; %bb.32:
	s_or_b64 exec, exec, s[2:3]
	s_and_saveexec_b64 s[2:3], s[6:7]
	s_cbranch_execnz .LBB17_129
.LBB17_33:
	s_or_b64 exec, exec, s[2:3]
	s_and_saveexec_b64 s[2:3], s[12:13]
	s_cbranch_execnz .LBB17_130
.LBB17_34:
	s_or_b64 exec, exec, s[2:3]
	s_and_saveexec_b64 s[2:3], s[14:15]
	s_cbranch_execz .LBB17_36
.LBB17_35:
	v_mul_lo_u32 v11, s19, v8
	v_mul_lo_u32 v21, s18, v9
	v_mad_u64_u32 v[19:20], s[16:17], s18, v8, 0
	v_add3_u32 v20, v20, v21, v11
	ds_read_u16 v11, v12 offset:4320
	v_lshlrev_b64 v[19:20], 1, v[19:20]
	v_add_co_u32_e32 v19, vcc, v3, v19
	v_addc_co_u32_e32 v20, vcc, v10, v20, vcc
	s_waitcnt lgkmcnt(0)
	global_store_short v[19:20], v11, off
.LBB17_36:
	s_or_b64 exec, exec, s[2:3]
	s_mov_b32 s3, 0
	s_or_b32 s2, s8, 2
	v_mov_b32_e32 v11, s3
	v_mov_b32_e32 v10, s2
	v_cmp_le_u64_e32 vcc, s[22:23], v[10:11]
	s_cbranch_vccnz .LBB17_126
; %bb.37:
	s_mul_i32 s3, s21, s2
	s_mul_hi_u32 s9, s20, s2
	s_add_i32 s17, s9, s3
	s_mul_i32 s16, s20, s2
	s_and_saveexec_b64 s[24:25], s[0:1]
	s_cbranch_execz .LBB17_46
; %bb.38:
	s_lshl_b64 s[2:3], s[16:17], 1
	v_ashrrev_i32_e32 v3, 31, v2
	v_mov_b32_e32 v10, s3
	v_cmp_gt_i64_e32 vcc, s[18:19], v[2:3]
	v_add_co_u32_e64 v19, s[2:3], s2, v15
	v_addc_co_u32_e64 v20, s[2:3], v16, v10, s[2:3]
	s_and_saveexec_b64 s[2:3], vcc
	s_cbranch_execz .LBB17_40
; %bb.39:
	v_mul_lo_u32 v21, s11, v2
	v_mul_lo_u32 v3, s10, v3
	v_mad_u64_u32 v[10:11], s[26:27], s10, v2, 0
	v_add3_u32 v11, v11, v3, v21
	v_lshlrev_b64 v[10:11], 1, v[10:11]
	v_add_co_u32_e32 v10, vcc, v19, v10
	v_addc_co_u32_e32 v11, vcc, v20, v11, vcc
	global_load_ushort v3, v[10:11], off
	v_add_u32_e32 v10, v13, v14
	s_waitcnt vmcnt(0)
	ds_write_b16 v10, v3
.LBB17_40:
	s_or_b64 exec, exec, s[2:3]
	v_add_u32_e32 v10, 8, v2
	v_ashrrev_i32_e32 v11, 31, v10
	v_cmp_gt_i64_e32 vcc, s[18:19], v[10:11]
	s_and_saveexec_b64 s[2:3], vcc
	s_cbranch_execz .LBB17_42
; %bb.41:
	v_mul_lo_u32 v3, s11, v10
	v_mul_lo_u32 v21, s10, v11
	v_mad_u64_u32 v[10:11], s[26:27], s10, v10, 0
	v_add3_u32 v11, v11, v21, v3
	v_lshlrev_b64 v[10:11], 1, v[10:11]
	v_add_co_u32_e32 v10, vcc, v19, v10
	v_addc_co_u32_e32 v11, vcc, v20, v11, vcc
	global_load_ushort v3, v[10:11], off
	v_add_u32_e32 v10, v13, v14
	s_waitcnt vmcnt(0)
	ds_write_b16 v10, v3 offset:1056
.LBB17_42:
	s_or_b64 exec, exec, s[2:3]
	v_add_u32_e32 v10, 16, v2
	v_ashrrev_i32_e32 v11, 31, v10
	v_cmp_gt_i64_e32 vcc, s[18:19], v[10:11]
	s_and_saveexec_b64 s[2:3], vcc
	s_cbranch_execz .LBB17_44
; %bb.43:
	v_mul_lo_u32 v3, s11, v10
	v_mul_lo_u32 v21, s10, v11
	v_mad_u64_u32 v[10:11], s[26:27], s10, v10, 0
	v_add3_u32 v11, v11, v21, v3
	v_lshlrev_b64 v[10:11], 1, v[10:11]
	v_add_co_u32_e32 v10, vcc, v19, v10
	v_addc_co_u32_e32 v11, vcc, v20, v11, vcc
	global_load_ushort v3, v[10:11], off
	v_add_u32_e32 v10, v13, v14
	s_waitcnt vmcnt(0)
	ds_write_b16 v10, v3 offset:2112
.LBB17_44:
	s_or_b64 exec, exec, s[2:3]
	v_add_u32_e32 v10, 24, v2
	v_ashrrev_i32_e32 v11, 31, v10
	v_cmp_gt_i64_e32 vcc, s[18:19], v[10:11]
	s_and_b64 exec, exec, vcc
	s_cbranch_execz .LBB17_46
; %bb.45:
	v_mul_lo_u32 v3, s11, v10
	v_mul_lo_u32 v21, s10, v11
	v_mad_u64_u32 v[10:11], s[2:3], s10, v10, 0
	v_add3_u32 v11, v11, v21, v3
	v_lshlrev_b64 v[10:11], 1, v[10:11]
	v_add_co_u32_e32 v10, vcc, v19, v10
	v_addc_co_u32_e32 v11, vcc, v20, v11, vcc
	global_load_ushort v3, v[10:11], off
	v_add_u32_e32 v10, v13, v14
	s_waitcnt vmcnt(0)
	ds_write_b16 v10, v3 offset:3168
.LBB17_46:
	s_or_b64 exec, exec, s[24:25]
	s_lshl_b64 s[2:3], s[16:17], 1
	v_mov_b32_e32 v10, s3
	v_add_co_u32_e32 v3, vcc, s2, v17
	v_addc_co_u32_e32 v10, vcc, v18, v10, vcc
	s_waitcnt vmcnt(0) lgkmcnt(0)
	s_barrier
	s_and_saveexec_b64 s[2:3], s[4:5]
	s_cbranch_execnz .LBB17_131
; %bb.47:
	s_or_b64 exec, exec, s[2:3]
	s_and_saveexec_b64 s[2:3], s[6:7]
	s_cbranch_execnz .LBB17_132
.LBB17_48:
	s_or_b64 exec, exec, s[2:3]
	s_and_saveexec_b64 s[2:3], s[12:13]
	s_cbranch_execnz .LBB17_133
.LBB17_49:
	s_or_b64 exec, exec, s[2:3]
	s_and_saveexec_b64 s[2:3], s[14:15]
	s_cbranch_execz .LBB17_51
.LBB17_50:
	v_mul_lo_u32 v11, s19, v8
	v_mul_lo_u32 v21, s18, v9
	v_mad_u64_u32 v[19:20], s[16:17], s18, v8, 0
	v_add3_u32 v20, v20, v21, v11
	ds_read_u16 v11, v12 offset:96
	v_lshlrev_b64 v[19:20], 1, v[19:20]
	v_add_co_u32_e32 v19, vcc, v3, v19
	v_addc_co_u32_e32 v20, vcc, v10, v20, vcc
	s_waitcnt lgkmcnt(0)
	global_store_short v[19:20], v11, off
.LBB17_51:
	s_or_b64 exec, exec, s[2:3]
	s_mov_b32 s3, 0
	s_or_b32 s2, s8, 3
	v_mov_b32_e32 v11, s3
	v_mov_b32_e32 v10, s2
	v_cmp_le_u64_e32 vcc, s[22:23], v[10:11]
	s_cbranch_vccnz .LBB17_126
; %bb.52:
	s_mul_i32 s3, s21, s2
	s_mul_hi_u32 s9, s20, s2
	s_add_i32 s17, s9, s3
	s_mul_i32 s16, s20, s2
	s_and_saveexec_b64 s[24:25], s[0:1]
	s_cbranch_execz .LBB17_61
; %bb.53:
	s_lshl_b64 s[2:3], s[16:17], 1
	v_ashrrev_i32_e32 v3, 31, v2
	v_mov_b32_e32 v10, s3
	v_cmp_gt_i64_e32 vcc, s[18:19], v[2:3]
	v_add_co_u32_e64 v19, s[2:3], s2, v15
	v_addc_co_u32_e64 v20, s[2:3], v16, v10, s[2:3]
	s_and_saveexec_b64 s[2:3], vcc
	s_cbranch_execz .LBB17_55
; %bb.54:
	v_mul_lo_u32 v21, s11, v2
	v_mul_lo_u32 v3, s10, v3
	v_mad_u64_u32 v[10:11], s[26:27], s10, v2, 0
	v_add3_u32 v11, v11, v3, v21
	v_lshlrev_b64 v[10:11], 1, v[10:11]
	v_add_co_u32_e32 v10, vcc, v19, v10
	v_addc_co_u32_e32 v11, vcc, v20, v11, vcc
	global_load_ushort v3, v[10:11], off
	v_add_u32_e32 v10, v13, v14
	s_waitcnt vmcnt(0)
	ds_write_b16 v10, v3 offset:4224
.LBB17_55:
	s_or_b64 exec, exec, s[2:3]
	v_add_u32_e32 v10, 8, v2
	v_ashrrev_i32_e32 v11, 31, v10
	v_cmp_gt_i64_e32 vcc, s[18:19], v[10:11]
	s_and_saveexec_b64 s[2:3], vcc
	s_cbranch_execz .LBB17_57
; %bb.56:
	v_mul_lo_u32 v3, s11, v10
	v_mul_lo_u32 v21, s10, v11
	v_mad_u64_u32 v[10:11], s[26:27], s10, v10, 0
	v_add3_u32 v11, v11, v21, v3
	v_lshlrev_b64 v[10:11], 1, v[10:11]
	v_add_co_u32_e32 v10, vcc, v19, v10
	v_addc_co_u32_e32 v11, vcc, v20, v11, vcc
	global_load_ushort v3, v[10:11], off
	v_add_u32_e32 v10, v13, v14
	s_waitcnt vmcnt(0)
	ds_write_b16 v10, v3 offset:5280
.LBB17_57:
	s_or_b64 exec, exec, s[2:3]
	v_add_u32_e32 v10, 16, v2
	v_ashrrev_i32_e32 v11, 31, v10
	v_cmp_gt_i64_e32 vcc, s[18:19], v[10:11]
	;; [unrolled: 19-line block ×3, first 2 shown]
	s_and_b64 exec, exec, vcc
	s_cbranch_execz .LBB17_61
; %bb.60:
	v_mul_lo_u32 v3, s11, v10
	v_mul_lo_u32 v21, s10, v11
	v_mad_u64_u32 v[10:11], s[2:3], s10, v10, 0
	v_add3_u32 v11, v11, v21, v3
	v_lshlrev_b64 v[10:11], 1, v[10:11]
	v_add_co_u32_e32 v10, vcc, v19, v10
	v_addc_co_u32_e32 v11, vcc, v20, v11, vcc
	global_load_ushort v3, v[10:11], off
	v_add_u32_e32 v10, v13, v14
	s_waitcnt vmcnt(0)
	ds_write_b16 v10, v3 offset:7392
.LBB17_61:
	s_or_b64 exec, exec, s[24:25]
	s_lshl_b64 s[2:3], s[16:17], 1
	v_mov_b32_e32 v10, s3
	v_add_co_u32_e32 v3, vcc, s2, v17
	v_addc_co_u32_e32 v10, vcc, v18, v10, vcc
	s_waitcnt vmcnt(0) lgkmcnt(0)
	s_barrier
	s_and_saveexec_b64 s[2:3], s[4:5]
	s_cbranch_execnz .LBB17_134
; %bb.62:
	s_or_b64 exec, exec, s[2:3]
	s_and_saveexec_b64 s[2:3], s[6:7]
	s_cbranch_execnz .LBB17_135
.LBB17_63:
	s_or_b64 exec, exec, s[2:3]
	s_and_saveexec_b64 s[2:3], s[12:13]
	s_cbranch_execnz .LBB17_136
.LBB17_64:
	s_or_b64 exec, exec, s[2:3]
	s_and_saveexec_b64 s[2:3], s[14:15]
	s_cbranch_execz .LBB17_66
.LBB17_65:
	v_mul_lo_u32 v11, s19, v8
	v_mul_lo_u32 v21, s18, v9
	v_mad_u64_u32 v[19:20], s[16:17], s18, v8, 0
	v_add3_u32 v20, v20, v21, v11
	ds_read_u16 v11, v12 offset:4320
	v_lshlrev_b64 v[19:20], 1, v[19:20]
	v_add_co_u32_e32 v19, vcc, v3, v19
	v_addc_co_u32_e32 v20, vcc, v10, v20, vcc
	s_waitcnt lgkmcnt(0)
	global_store_short v[19:20], v11, off
.LBB17_66:
	s_or_b64 exec, exec, s[2:3]
	s_mov_b32 s3, 0
	s_or_b32 s2, s8, 4
	v_mov_b32_e32 v11, s3
	v_mov_b32_e32 v10, s2
	v_cmp_le_u64_e32 vcc, s[22:23], v[10:11]
	s_cbranch_vccnz .LBB17_126
; %bb.67:
	s_mul_i32 s3, s21, s2
	s_mul_hi_u32 s9, s20, s2
	s_add_i32 s17, s9, s3
	s_mul_i32 s16, s20, s2
	s_and_saveexec_b64 s[24:25], s[0:1]
	s_cbranch_execz .LBB17_76
; %bb.68:
	s_lshl_b64 s[2:3], s[16:17], 1
	v_ashrrev_i32_e32 v3, 31, v2
	v_mov_b32_e32 v10, s3
	v_cmp_gt_i64_e32 vcc, s[18:19], v[2:3]
	v_add_co_u32_e64 v19, s[2:3], s2, v15
	v_addc_co_u32_e64 v20, s[2:3], v16, v10, s[2:3]
	s_and_saveexec_b64 s[2:3], vcc
	s_cbranch_execz .LBB17_70
; %bb.69:
	v_mul_lo_u32 v21, s11, v2
	v_mul_lo_u32 v3, s10, v3
	v_mad_u64_u32 v[10:11], s[26:27], s10, v2, 0
	v_add3_u32 v11, v11, v3, v21
	v_lshlrev_b64 v[10:11], 1, v[10:11]
	v_add_co_u32_e32 v10, vcc, v19, v10
	v_addc_co_u32_e32 v11, vcc, v20, v11, vcc
	global_load_ushort v3, v[10:11], off
	v_add_u32_e32 v10, v13, v14
	s_waitcnt vmcnt(0)
	ds_write_b16 v10, v3
.LBB17_70:
	s_or_b64 exec, exec, s[2:3]
	v_add_u32_e32 v10, 8, v2
	v_ashrrev_i32_e32 v11, 31, v10
	v_cmp_gt_i64_e32 vcc, s[18:19], v[10:11]
	s_and_saveexec_b64 s[2:3], vcc
	s_cbranch_execz .LBB17_72
; %bb.71:
	v_mul_lo_u32 v3, s11, v10
	v_mul_lo_u32 v21, s10, v11
	v_mad_u64_u32 v[10:11], s[26:27], s10, v10, 0
	v_add3_u32 v11, v11, v21, v3
	v_lshlrev_b64 v[10:11], 1, v[10:11]
	v_add_co_u32_e32 v10, vcc, v19, v10
	v_addc_co_u32_e32 v11, vcc, v20, v11, vcc
	global_load_ushort v3, v[10:11], off
	v_add_u32_e32 v10, v13, v14
	s_waitcnt vmcnt(0)
	ds_write_b16 v10, v3 offset:1056
.LBB17_72:
	s_or_b64 exec, exec, s[2:3]
	v_add_u32_e32 v10, 16, v2
	v_ashrrev_i32_e32 v11, 31, v10
	v_cmp_gt_i64_e32 vcc, s[18:19], v[10:11]
	s_and_saveexec_b64 s[2:3], vcc
	s_cbranch_execz .LBB17_74
; %bb.73:
	v_mul_lo_u32 v3, s11, v10
	v_mul_lo_u32 v21, s10, v11
	v_mad_u64_u32 v[10:11], s[26:27], s10, v10, 0
	v_add3_u32 v11, v11, v21, v3
	v_lshlrev_b64 v[10:11], 1, v[10:11]
	v_add_co_u32_e32 v10, vcc, v19, v10
	v_addc_co_u32_e32 v11, vcc, v20, v11, vcc
	global_load_ushort v3, v[10:11], off
	v_add_u32_e32 v10, v13, v14
	s_waitcnt vmcnt(0)
	ds_write_b16 v10, v3 offset:2112
.LBB17_74:
	s_or_b64 exec, exec, s[2:3]
	v_add_u32_e32 v10, 24, v2
	v_ashrrev_i32_e32 v11, 31, v10
	v_cmp_gt_i64_e32 vcc, s[18:19], v[10:11]
	s_and_b64 exec, exec, vcc
	s_cbranch_execz .LBB17_76
; %bb.75:
	v_mul_lo_u32 v3, s11, v10
	v_mul_lo_u32 v21, s10, v11
	v_mad_u64_u32 v[10:11], s[2:3], s10, v10, 0
	v_add3_u32 v11, v11, v21, v3
	v_lshlrev_b64 v[10:11], 1, v[10:11]
	v_add_co_u32_e32 v10, vcc, v19, v10
	v_addc_co_u32_e32 v11, vcc, v20, v11, vcc
	global_load_ushort v3, v[10:11], off
	v_add_u32_e32 v10, v13, v14
	s_waitcnt vmcnt(0)
	ds_write_b16 v10, v3 offset:3168
.LBB17_76:
	s_or_b64 exec, exec, s[24:25]
	s_lshl_b64 s[2:3], s[16:17], 1
	v_mov_b32_e32 v10, s3
	v_add_co_u32_e32 v3, vcc, s2, v17
	v_addc_co_u32_e32 v10, vcc, v18, v10, vcc
	s_waitcnt vmcnt(0) lgkmcnt(0)
	s_barrier
	s_and_saveexec_b64 s[2:3], s[4:5]
	s_cbranch_execnz .LBB17_137
; %bb.77:
	s_or_b64 exec, exec, s[2:3]
	s_and_saveexec_b64 s[2:3], s[6:7]
	s_cbranch_execnz .LBB17_138
.LBB17_78:
	s_or_b64 exec, exec, s[2:3]
	s_and_saveexec_b64 s[2:3], s[12:13]
	s_cbranch_execnz .LBB17_139
.LBB17_79:
	s_or_b64 exec, exec, s[2:3]
	s_and_saveexec_b64 s[2:3], s[14:15]
	s_cbranch_execz .LBB17_81
.LBB17_80:
	v_mul_lo_u32 v11, s19, v8
	v_mul_lo_u32 v21, s18, v9
	v_mad_u64_u32 v[19:20], s[16:17], s18, v8, 0
	v_add3_u32 v20, v20, v21, v11
	ds_read_u16 v11, v12 offset:96
	v_lshlrev_b64 v[19:20], 1, v[19:20]
	v_add_co_u32_e32 v19, vcc, v3, v19
	v_addc_co_u32_e32 v20, vcc, v10, v20, vcc
	s_waitcnt lgkmcnt(0)
	global_store_short v[19:20], v11, off
.LBB17_81:
	s_or_b64 exec, exec, s[2:3]
	s_mov_b32 s3, 0
	s_or_b32 s2, s8, 5
	v_mov_b32_e32 v11, s3
	v_mov_b32_e32 v10, s2
	v_cmp_le_u64_e32 vcc, s[22:23], v[10:11]
	s_cbranch_vccnz .LBB17_126
; %bb.82:
	s_mul_i32 s3, s21, s2
	s_mul_hi_u32 s9, s20, s2
	s_add_i32 s17, s9, s3
	s_mul_i32 s16, s20, s2
	s_and_saveexec_b64 s[24:25], s[0:1]
	s_cbranch_execz .LBB17_91
; %bb.83:
	s_lshl_b64 s[2:3], s[16:17], 1
	v_ashrrev_i32_e32 v3, 31, v2
	v_mov_b32_e32 v10, s3
	v_cmp_gt_i64_e32 vcc, s[18:19], v[2:3]
	v_add_co_u32_e64 v19, s[2:3], s2, v15
	v_addc_co_u32_e64 v20, s[2:3], v16, v10, s[2:3]
	s_and_saveexec_b64 s[2:3], vcc
	s_cbranch_execz .LBB17_85
; %bb.84:
	v_mul_lo_u32 v21, s11, v2
	v_mul_lo_u32 v3, s10, v3
	v_mad_u64_u32 v[10:11], s[26:27], s10, v2, 0
	v_add3_u32 v11, v11, v3, v21
	v_lshlrev_b64 v[10:11], 1, v[10:11]
	v_add_co_u32_e32 v10, vcc, v19, v10
	v_addc_co_u32_e32 v11, vcc, v20, v11, vcc
	global_load_ushort v3, v[10:11], off
	v_add_u32_e32 v10, v13, v14
	s_waitcnt vmcnt(0)
	ds_write_b16 v10, v3 offset:4224
.LBB17_85:
	s_or_b64 exec, exec, s[2:3]
	v_add_u32_e32 v10, 8, v2
	v_ashrrev_i32_e32 v11, 31, v10
	v_cmp_gt_i64_e32 vcc, s[18:19], v[10:11]
	s_and_saveexec_b64 s[2:3], vcc
	s_cbranch_execz .LBB17_87
; %bb.86:
	v_mul_lo_u32 v3, s11, v10
	v_mul_lo_u32 v21, s10, v11
	v_mad_u64_u32 v[10:11], s[26:27], s10, v10, 0
	v_add3_u32 v11, v11, v21, v3
	v_lshlrev_b64 v[10:11], 1, v[10:11]
	v_add_co_u32_e32 v10, vcc, v19, v10
	v_addc_co_u32_e32 v11, vcc, v20, v11, vcc
	global_load_ushort v3, v[10:11], off
	v_add_u32_e32 v10, v13, v14
	s_waitcnt vmcnt(0)
	ds_write_b16 v10, v3 offset:5280
.LBB17_87:
	s_or_b64 exec, exec, s[2:3]
	v_add_u32_e32 v10, 16, v2
	v_ashrrev_i32_e32 v11, 31, v10
	v_cmp_gt_i64_e32 vcc, s[18:19], v[10:11]
	;; [unrolled: 19-line block ×3, first 2 shown]
	s_and_b64 exec, exec, vcc
	s_cbranch_execz .LBB17_91
; %bb.90:
	v_mul_lo_u32 v3, s11, v10
	v_mul_lo_u32 v21, s10, v11
	v_mad_u64_u32 v[10:11], s[2:3], s10, v10, 0
	v_add3_u32 v11, v11, v21, v3
	v_lshlrev_b64 v[10:11], 1, v[10:11]
	v_add_co_u32_e32 v10, vcc, v19, v10
	v_addc_co_u32_e32 v11, vcc, v20, v11, vcc
	global_load_ushort v3, v[10:11], off
	v_add_u32_e32 v10, v13, v14
	s_waitcnt vmcnt(0)
	ds_write_b16 v10, v3 offset:7392
.LBB17_91:
	s_or_b64 exec, exec, s[24:25]
	s_lshl_b64 s[2:3], s[16:17], 1
	v_mov_b32_e32 v10, s3
	v_add_co_u32_e32 v3, vcc, s2, v17
	v_addc_co_u32_e32 v10, vcc, v18, v10, vcc
	s_waitcnt vmcnt(0) lgkmcnt(0)
	s_barrier
	s_and_saveexec_b64 s[2:3], s[4:5]
	s_cbranch_execnz .LBB17_140
; %bb.92:
	s_or_b64 exec, exec, s[2:3]
	s_and_saveexec_b64 s[2:3], s[6:7]
	s_cbranch_execnz .LBB17_141
.LBB17_93:
	s_or_b64 exec, exec, s[2:3]
	s_and_saveexec_b64 s[2:3], s[12:13]
	s_cbranch_execnz .LBB17_142
.LBB17_94:
	s_or_b64 exec, exec, s[2:3]
	s_and_saveexec_b64 s[2:3], s[14:15]
	s_cbranch_execz .LBB17_96
.LBB17_95:
	v_mul_lo_u32 v11, s19, v8
	v_mul_lo_u32 v21, s18, v9
	v_mad_u64_u32 v[19:20], s[16:17], s18, v8, 0
	v_add3_u32 v20, v20, v21, v11
	ds_read_u16 v11, v12 offset:4320
	v_lshlrev_b64 v[19:20], 1, v[19:20]
	v_add_co_u32_e32 v19, vcc, v3, v19
	v_addc_co_u32_e32 v20, vcc, v10, v20, vcc
	s_waitcnt lgkmcnt(0)
	global_store_short v[19:20], v11, off
.LBB17_96:
	s_or_b64 exec, exec, s[2:3]
	s_mov_b32 s3, 0
	s_or_b32 s2, s8, 6
	v_mov_b32_e32 v11, s3
	v_mov_b32_e32 v10, s2
	v_cmp_le_u64_e32 vcc, s[22:23], v[10:11]
	s_cbranch_vccnz .LBB17_126
; %bb.97:
	s_mul_i32 s3, s21, s2
	s_mul_hi_u32 s9, s20, s2
	s_add_i32 s17, s9, s3
	s_mul_i32 s16, s20, s2
	s_and_saveexec_b64 s[24:25], s[0:1]
	s_cbranch_execz .LBB17_106
; %bb.98:
	s_lshl_b64 s[2:3], s[16:17], 1
	v_ashrrev_i32_e32 v3, 31, v2
	v_mov_b32_e32 v10, s3
	v_cmp_gt_i64_e32 vcc, s[18:19], v[2:3]
	v_add_co_u32_e64 v19, s[2:3], s2, v15
	v_addc_co_u32_e64 v20, s[2:3], v16, v10, s[2:3]
	s_and_saveexec_b64 s[2:3], vcc
	s_cbranch_execz .LBB17_100
; %bb.99:
	v_mul_lo_u32 v21, s11, v2
	v_mul_lo_u32 v3, s10, v3
	v_mad_u64_u32 v[10:11], s[26:27], s10, v2, 0
	v_add3_u32 v11, v11, v3, v21
	v_lshlrev_b64 v[10:11], 1, v[10:11]
	v_add_co_u32_e32 v10, vcc, v19, v10
	v_addc_co_u32_e32 v11, vcc, v20, v11, vcc
	global_load_ushort v3, v[10:11], off
	v_add_u32_e32 v10, v13, v14
	s_waitcnt vmcnt(0)
	ds_write_b16 v10, v3
.LBB17_100:
	s_or_b64 exec, exec, s[2:3]
	v_add_u32_e32 v10, 8, v2
	v_ashrrev_i32_e32 v11, 31, v10
	v_cmp_gt_i64_e32 vcc, s[18:19], v[10:11]
	s_and_saveexec_b64 s[2:3], vcc
	s_cbranch_execz .LBB17_102
; %bb.101:
	v_mul_lo_u32 v3, s11, v10
	v_mul_lo_u32 v21, s10, v11
	v_mad_u64_u32 v[10:11], s[26:27], s10, v10, 0
	v_add3_u32 v11, v11, v21, v3
	v_lshlrev_b64 v[10:11], 1, v[10:11]
	v_add_co_u32_e32 v10, vcc, v19, v10
	v_addc_co_u32_e32 v11, vcc, v20, v11, vcc
	global_load_ushort v3, v[10:11], off
	v_add_u32_e32 v10, v13, v14
	s_waitcnt vmcnt(0)
	ds_write_b16 v10, v3 offset:1056
.LBB17_102:
	s_or_b64 exec, exec, s[2:3]
	v_add_u32_e32 v10, 16, v2
	v_ashrrev_i32_e32 v11, 31, v10
	v_cmp_gt_i64_e32 vcc, s[18:19], v[10:11]
	s_and_saveexec_b64 s[2:3], vcc
	s_cbranch_execz .LBB17_104
; %bb.103:
	v_mul_lo_u32 v3, s11, v10
	v_mul_lo_u32 v21, s10, v11
	v_mad_u64_u32 v[10:11], s[26:27], s10, v10, 0
	v_add3_u32 v11, v11, v21, v3
	v_lshlrev_b64 v[10:11], 1, v[10:11]
	v_add_co_u32_e32 v10, vcc, v19, v10
	v_addc_co_u32_e32 v11, vcc, v20, v11, vcc
	global_load_ushort v3, v[10:11], off
	v_add_u32_e32 v10, v13, v14
	s_waitcnt vmcnt(0)
	ds_write_b16 v10, v3 offset:2112
.LBB17_104:
	s_or_b64 exec, exec, s[2:3]
	v_add_u32_e32 v10, 24, v2
	v_ashrrev_i32_e32 v11, 31, v10
	v_cmp_gt_i64_e32 vcc, s[18:19], v[10:11]
	s_and_b64 exec, exec, vcc
	s_cbranch_execz .LBB17_106
; %bb.105:
	v_mul_lo_u32 v3, s11, v10
	v_mul_lo_u32 v21, s10, v11
	v_mad_u64_u32 v[10:11], s[2:3], s10, v10, 0
	v_add3_u32 v11, v11, v21, v3
	v_lshlrev_b64 v[10:11], 1, v[10:11]
	v_add_co_u32_e32 v10, vcc, v19, v10
	v_addc_co_u32_e32 v11, vcc, v20, v11, vcc
	global_load_ushort v3, v[10:11], off
	v_add_u32_e32 v10, v13, v14
	s_waitcnt vmcnt(0)
	ds_write_b16 v10, v3 offset:3168
.LBB17_106:
	s_or_b64 exec, exec, s[24:25]
	s_lshl_b64 s[2:3], s[16:17], 1
	v_mov_b32_e32 v10, s3
	v_add_co_u32_e32 v3, vcc, s2, v17
	v_addc_co_u32_e32 v10, vcc, v18, v10, vcc
	s_waitcnt vmcnt(0) lgkmcnt(0)
	s_barrier
	s_and_saveexec_b64 s[2:3], s[4:5]
	s_cbranch_execnz .LBB17_143
; %bb.107:
	s_or_b64 exec, exec, s[2:3]
	s_and_saveexec_b64 s[2:3], s[6:7]
	s_cbranch_execnz .LBB17_144
.LBB17_108:
	s_or_b64 exec, exec, s[2:3]
	s_and_saveexec_b64 s[2:3], s[12:13]
	s_cbranch_execnz .LBB17_145
.LBB17_109:
	s_or_b64 exec, exec, s[2:3]
	s_and_saveexec_b64 s[2:3], s[14:15]
	s_cbranch_execz .LBB17_111
.LBB17_110:
	v_mul_lo_u32 v11, s19, v8
	v_mul_lo_u32 v21, s18, v9
	v_mad_u64_u32 v[19:20], s[16:17], s18, v8, 0
	v_add3_u32 v20, v20, v21, v11
	ds_read_u16 v11, v12 offset:96
	v_lshlrev_b64 v[19:20], 1, v[19:20]
	v_add_co_u32_e32 v19, vcc, v3, v19
	v_addc_co_u32_e32 v20, vcc, v10, v20, vcc
	s_waitcnt lgkmcnt(0)
	global_store_short v[19:20], v11, off
.LBB17_111:
	s_or_b64 exec, exec, s[2:3]
	s_mov_b32 s3, 0
	s_or_b32 s2, s8, 7
	v_mov_b32_e32 v11, s3
	v_mov_b32_e32 v10, s2
	v_cmp_le_u64_e32 vcc, s[22:23], v[10:11]
	s_cbranch_vccnz .LBB17_126
; %bb.112:
	s_mul_i32 s3, s21, s2
	s_mul_hi_u32 s8, s20, s2
	s_add_i32 s3, s8, s3
	s_mul_i32 s2, s20, s2
	s_and_saveexec_b64 s[8:9], s[0:1]
	s_cbranch_execz .LBB17_121
; %bb.113:
	s_lshl_b64 s[0:1], s[2:3], 1
	v_mov_b32_e32 v3, s1
	v_add_co_u32_e32 v15, vcc, s0, v15
	v_addc_co_u32_e32 v16, vcc, v16, v3, vcc
	v_ashrrev_i32_e32 v3, 31, v2
	v_cmp_gt_i64_e32 vcc, s[18:19], v[2:3]
	v_add_u32_e32 v13, v13, v14
	s_and_saveexec_b64 s[0:1], vcc
	s_cbranch_execz .LBB17_115
; %bb.114:
	v_mul_lo_u32 v14, s11, v2
	v_mul_lo_u32 v3, s10, v3
	v_mad_u64_u32 v[10:11], s[16:17], s10, v2, 0
	v_add3_u32 v11, v11, v3, v14
	v_lshlrev_b64 v[10:11], 1, v[10:11]
	v_add_co_u32_e32 v10, vcc, v15, v10
	v_addc_co_u32_e32 v11, vcc, v16, v11, vcc
	global_load_ushort v3, v[10:11], off
	s_waitcnt vmcnt(0)
	ds_write_b16 v13, v3 offset:4224
.LBB17_115:
	s_or_b64 exec, exec, s[0:1]
	v_add_u32_e32 v10, 8, v2
	v_ashrrev_i32_e32 v11, 31, v10
	v_cmp_gt_i64_e32 vcc, s[18:19], v[10:11]
	s_and_saveexec_b64 s[0:1], vcc
	s_cbranch_execz .LBB17_117
; %bb.116:
	v_mul_lo_u32 v3, s11, v10
	v_mul_lo_u32 v14, s10, v11
	v_mad_u64_u32 v[10:11], s[16:17], s10, v10, 0
	v_add3_u32 v11, v11, v14, v3
	v_lshlrev_b64 v[10:11], 1, v[10:11]
	v_add_co_u32_e32 v10, vcc, v15, v10
	v_addc_co_u32_e32 v11, vcc, v16, v11, vcc
	global_load_ushort v3, v[10:11], off
	s_waitcnt vmcnt(0)
	ds_write_b16 v13, v3 offset:5280
.LBB17_117:
	s_or_b64 exec, exec, s[0:1]
	v_add_u32_e32 v10, 16, v2
	v_ashrrev_i32_e32 v11, 31, v10
	v_cmp_gt_i64_e32 vcc, s[18:19], v[10:11]
	s_and_saveexec_b64 s[0:1], vcc
	s_cbranch_execz .LBB17_119
; %bb.118:
	v_mul_lo_u32 v3, s11, v10
	v_mul_lo_u32 v14, s10, v11
	v_mad_u64_u32 v[10:11], s[16:17], s10, v10, 0
	v_add3_u32 v11, v11, v14, v3
	v_lshlrev_b64 v[10:11], 1, v[10:11]
	v_add_co_u32_e32 v10, vcc, v15, v10
	v_addc_co_u32_e32 v11, vcc, v16, v11, vcc
	global_load_ushort v3, v[10:11], off
	s_waitcnt vmcnt(0)
	ds_write_b16 v13, v3 offset:6336
.LBB17_119:
	s_or_b64 exec, exec, s[0:1]
	v_add_u32_e32 v2, 24, v2
	v_ashrrev_i32_e32 v3, 31, v2
	v_cmp_gt_i64_e32 vcc, s[18:19], v[2:3]
	s_and_b64 exec, exec, vcc
	s_cbranch_execz .LBB17_121
; %bb.120:
	v_mul_lo_u32 v10, s11, v2
	v_mul_lo_u32 v11, s10, v3
	v_mad_u64_u32 v[2:3], s[0:1], s10, v2, 0
	v_add3_u32 v3, v3, v11, v10
	v_lshlrev_b64 v[2:3], 1, v[2:3]
	v_add_co_u32_e32 v2, vcc, v15, v2
	v_addc_co_u32_e32 v3, vcc, v16, v3, vcc
	global_load_ushort v2, v[2:3], off
	s_waitcnt vmcnt(0)
	ds_write_b16 v13, v2 offset:7392
.LBB17_121:
	s_or_b64 exec, exec, s[8:9]
	s_lshl_b64 s[0:1], s[2:3], 1
	v_mov_b32_e32 v3, s1
	v_add_co_u32_e32 v2, vcc, s0, v17
	v_addc_co_u32_e32 v3, vcc, v18, v3, vcc
	s_waitcnt vmcnt(0) lgkmcnt(0)
	s_barrier
	s_and_saveexec_b64 s[0:1], s[4:5]
	s_cbranch_execnz .LBB17_146
; %bb.122:
	s_or_b64 exec, exec, s[0:1]
	s_and_saveexec_b64 s[0:1], s[6:7]
	s_cbranch_execnz .LBB17_147
.LBB17_123:
	s_or_b64 exec, exec, s[0:1]
	s_and_saveexec_b64 s[0:1], s[12:13]
	s_cbranch_execnz .LBB17_148
.LBB17_124:
	s_or_b64 exec, exec, s[0:1]
	s_and_saveexec_b64 s[0:1], s[14:15]
	s_cbranch_execz .LBB17_126
.LBB17_125:
	v_mul_lo_u32 v4, s19, v8
	v_mul_lo_u32 v5, s18, v9
	v_mad_u64_u32 v[0:1], s[0:1], s18, v8, 0
	v_add3_u32 v1, v1, v5, v4
	ds_read_u16 v4, v12 offset:4320
	v_lshlrev_b64 v[0:1], 1, v[0:1]
	v_add_co_u32_e32 v0, vcc, v2, v0
	v_addc_co_u32_e32 v1, vcc, v3, v1, vcc
	s_waitcnt lgkmcnt(0)
	global_store_short v[0:1], v4, off
.LBB17_126:
	s_endpgm
.LBB17_127:
                                        ; implicit-def: $sgpr22_sgpr23
	s_branch .LBB17_2
.LBB17_128:
	v_mul_lo_u32 v11, s19, v4
	v_mul_lo_u32 v21, s18, v5
	v_mad_u64_u32 v[19:20], s[16:17], s18, v4, 0
	v_add3_u32 v20, v20, v21, v11
	ds_read_u16 v11, v12 offset:4224
	v_lshlrev_b64 v[19:20], 1, v[19:20]
	v_add_co_u32_e32 v19, vcc, v3, v19
	v_addc_co_u32_e32 v20, vcc, v10, v20, vcc
	s_waitcnt lgkmcnt(0)
	global_store_short v[19:20], v11, off
	s_or_b64 exec, exec, s[2:3]
	s_and_saveexec_b64 s[2:3], s[6:7]
	s_cbranch_execz .LBB17_33
.LBB17_129:
	v_mul_lo_u32 v11, s19, v0
	v_mul_lo_u32 v21, s18, v1
	v_mad_u64_u32 v[19:20], s[16:17], s18, v0, 0
	v_add3_u32 v20, v20, v21, v11
	ds_read_u16 v11, v12 offset:4256
	v_lshlrev_b64 v[19:20], 1, v[19:20]
	v_add_co_u32_e32 v19, vcc, v3, v19
	v_addc_co_u32_e32 v20, vcc, v10, v20, vcc
	s_waitcnt lgkmcnt(0)
	global_store_short v[19:20], v11, off
	s_or_b64 exec, exec, s[2:3]
	s_and_saveexec_b64 s[2:3], s[12:13]
	s_cbranch_execz .LBB17_34
.LBB17_130:
	v_mul_lo_u32 v11, s19, v6
	v_mul_lo_u32 v21, s18, v7
	v_mad_u64_u32 v[19:20], s[16:17], s18, v6, 0
	v_add3_u32 v20, v20, v21, v11
	ds_read_u16 v11, v12 offset:4288
	v_lshlrev_b64 v[19:20], 1, v[19:20]
	v_add_co_u32_e32 v19, vcc, v3, v19
	v_addc_co_u32_e32 v20, vcc, v10, v20, vcc
	s_waitcnt lgkmcnt(0)
	global_store_short v[19:20], v11, off
	s_or_b64 exec, exec, s[2:3]
	s_and_saveexec_b64 s[2:3], s[14:15]
	s_cbranch_execnz .LBB17_35
	s_branch .LBB17_36
.LBB17_131:
	v_mul_lo_u32 v11, s19, v4
	v_mul_lo_u32 v21, s18, v5
	v_mad_u64_u32 v[19:20], s[16:17], s18, v4, 0
	v_add3_u32 v20, v20, v21, v11
	ds_read_u16 v11, v12
	v_lshlrev_b64 v[19:20], 1, v[19:20]
	v_add_co_u32_e32 v19, vcc, v3, v19
	v_addc_co_u32_e32 v20, vcc, v10, v20, vcc
	s_waitcnt lgkmcnt(0)
	global_store_short v[19:20], v11, off
	s_or_b64 exec, exec, s[2:3]
	s_and_saveexec_b64 s[2:3], s[6:7]
	s_cbranch_execz .LBB17_48
.LBB17_132:
	v_mul_lo_u32 v11, s19, v0
	v_mul_lo_u32 v21, s18, v1
	v_mad_u64_u32 v[19:20], s[16:17], s18, v0, 0
	v_add3_u32 v20, v20, v21, v11
	ds_read_u16 v11, v12 offset:32
	v_lshlrev_b64 v[19:20], 1, v[19:20]
	v_add_co_u32_e32 v19, vcc, v3, v19
	v_addc_co_u32_e32 v20, vcc, v10, v20, vcc
	s_waitcnt lgkmcnt(0)
	global_store_short v[19:20], v11, off
	s_or_b64 exec, exec, s[2:3]
	s_and_saveexec_b64 s[2:3], s[12:13]
	s_cbranch_execz .LBB17_49
.LBB17_133:
	v_mul_lo_u32 v11, s19, v6
	v_mul_lo_u32 v21, s18, v7
	v_mad_u64_u32 v[19:20], s[16:17], s18, v6, 0
	v_add3_u32 v20, v20, v21, v11
	ds_read_u16 v11, v12 offset:64
	v_lshlrev_b64 v[19:20], 1, v[19:20]
	v_add_co_u32_e32 v19, vcc, v3, v19
	v_addc_co_u32_e32 v20, vcc, v10, v20, vcc
	s_waitcnt lgkmcnt(0)
	global_store_short v[19:20], v11, off
	s_or_b64 exec, exec, s[2:3]
	s_and_saveexec_b64 s[2:3], s[14:15]
	s_cbranch_execnz .LBB17_50
	s_branch .LBB17_51
.LBB17_134:
	v_mul_lo_u32 v11, s19, v4
	v_mul_lo_u32 v21, s18, v5
	v_mad_u64_u32 v[19:20], s[16:17], s18, v4, 0
	v_add3_u32 v20, v20, v21, v11
	ds_read_u16 v11, v12 offset:4224
	v_lshlrev_b64 v[19:20], 1, v[19:20]
	v_add_co_u32_e32 v19, vcc, v3, v19
	v_addc_co_u32_e32 v20, vcc, v10, v20, vcc
	s_waitcnt lgkmcnt(0)
	global_store_short v[19:20], v11, off
	s_or_b64 exec, exec, s[2:3]
	s_and_saveexec_b64 s[2:3], s[6:7]
	s_cbranch_execz .LBB17_63
.LBB17_135:
	v_mul_lo_u32 v11, s19, v0
	v_mul_lo_u32 v21, s18, v1
	v_mad_u64_u32 v[19:20], s[16:17], s18, v0, 0
	v_add3_u32 v20, v20, v21, v11
	ds_read_u16 v11, v12 offset:4256
	v_lshlrev_b64 v[19:20], 1, v[19:20]
	v_add_co_u32_e32 v19, vcc, v3, v19
	v_addc_co_u32_e32 v20, vcc, v10, v20, vcc
	s_waitcnt lgkmcnt(0)
	global_store_short v[19:20], v11, off
	s_or_b64 exec, exec, s[2:3]
	s_and_saveexec_b64 s[2:3], s[12:13]
	s_cbranch_execz .LBB17_64
.LBB17_136:
	v_mul_lo_u32 v11, s19, v6
	v_mul_lo_u32 v21, s18, v7
	v_mad_u64_u32 v[19:20], s[16:17], s18, v6, 0
	v_add3_u32 v20, v20, v21, v11
	ds_read_u16 v11, v12 offset:4288
	v_lshlrev_b64 v[19:20], 1, v[19:20]
	v_add_co_u32_e32 v19, vcc, v3, v19
	v_addc_co_u32_e32 v20, vcc, v10, v20, vcc
	s_waitcnt lgkmcnt(0)
	global_store_short v[19:20], v11, off
	s_or_b64 exec, exec, s[2:3]
	s_and_saveexec_b64 s[2:3], s[14:15]
	s_cbranch_execnz .LBB17_65
	s_branch .LBB17_66
.LBB17_137:
	v_mul_lo_u32 v11, s19, v4
	v_mul_lo_u32 v21, s18, v5
	v_mad_u64_u32 v[19:20], s[16:17], s18, v4, 0
	v_add3_u32 v20, v20, v21, v11
	ds_read_u16 v11, v12
	v_lshlrev_b64 v[19:20], 1, v[19:20]
	v_add_co_u32_e32 v19, vcc, v3, v19
	v_addc_co_u32_e32 v20, vcc, v10, v20, vcc
	s_waitcnt lgkmcnt(0)
	global_store_short v[19:20], v11, off
	s_or_b64 exec, exec, s[2:3]
	s_and_saveexec_b64 s[2:3], s[6:7]
	s_cbranch_execz .LBB17_78
.LBB17_138:
	v_mul_lo_u32 v11, s19, v0
	v_mul_lo_u32 v21, s18, v1
	v_mad_u64_u32 v[19:20], s[16:17], s18, v0, 0
	v_add3_u32 v20, v20, v21, v11
	ds_read_u16 v11, v12 offset:32
	v_lshlrev_b64 v[19:20], 1, v[19:20]
	v_add_co_u32_e32 v19, vcc, v3, v19
	v_addc_co_u32_e32 v20, vcc, v10, v20, vcc
	s_waitcnt lgkmcnt(0)
	global_store_short v[19:20], v11, off
	s_or_b64 exec, exec, s[2:3]
	s_and_saveexec_b64 s[2:3], s[12:13]
	s_cbranch_execz .LBB17_79
.LBB17_139:
	v_mul_lo_u32 v11, s19, v6
	v_mul_lo_u32 v21, s18, v7
	v_mad_u64_u32 v[19:20], s[16:17], s18, v6, 0
	v_add3_u32 v20, v20, v21, v11
	ds_read_u16 v11, v12 offset:64
	v_lshlrev_b64 v[19:20], 1, v[19:20]
	v_add_co_u32_e32 v19, vcc, v3, v19
	v_addc_co_u32_e32 v20, vcc, v10, v20, vcc
	s_waitcnt lgkmcnt(0)
	global_store_short v[19:20], v11, off
	s_or_b64 exec, exec, s[2:3]
	s_and_saveexec_b64 s[2:3], s[14:15]
	s_cbranch_execnz .LBB17_80
	s_branch .LBB17_81
.LBB17_140:
	v_mul_lo_u32 v11, s19, v4
	v_mul_lo_u32 v21, s18, v5
	v_mad_u64_u32 v[19:20], s[16:17], s18, v4, 0
	v_add3_u32 v20, v20, v21, v11
	ds_read_u16 v11, v12 offset:4224
	v_lshlrev_b64 v[19:20], 1, v[19:20]
	v_add_co_u32_e32 v19, vcc, v3, v19
	v_addc_co_u32_e32 v20, vcc, v10, v20, vcc
	s_waitcnt lgkmcnt(0)
	global_store_short v[19:20], v11, off
	s_or_b64 exec, exec, s[2:3]
	s_and_saveexec_b64 s[2:3], s[6:7]
	s_cbranch_execz .LBB17_93
.LBB17_141:
	v_mul_lo_u32 v11, s19, v0
	v_mul_lo_u32 v21, s18, v1
	v_mad_u64_u32 v[19:20], s[16:17], s18, v0, 0
	v_add3_u32 v20, v20, v21, v11
	ds_read_u16 v11, v12 offset:4256
	v_lshlrev_b64 v[19:20], 1, v[19:20]
	v_add_co_u32_e32 v19, vcc, v3, v19
	v_addc_co_u32_e32 v20, vcc, v10, v20, vcc
	s_waitcnt lgkmcnt(0)
	global_store_short v[19:20], v11, off
	s_or_b64 exec, exec, s[2:3]
	s_and_saveexec_b64 s[2:3], s[12:13]
	s_cbranch_execz .LBB17_94
.LBB17_142:
	v_mul_lo_u32 v11, s19, v6
	v_mul_lo_u32 v21, s18, v7
	v_mad_u64_u32 v[19:20], s[16:17], s18, v6, 0
	v_add3_u32 v20, v20, v21, v11
	ds_read_u16 v11, v12 offset:4288
	v_lshlrev_b64 v[19:20], 1, v[19:20]
	v_add_co_u32_e32 v19, vcc, v3, v19
	v_addc_co_u32_e32 v20, vcc, v10, v20, vcc
	s_waitcnt lgkmcnt(0)
	global_store_short v[19:20], v11, off
	s_or_b64 exec, exec, s[2:3]
	s_and_saveexec_b64 s[2:3], s[14:15]
	s_cbranch_execnz .LBB17_95
	s_branch .LBB17_96
.LBB17_143:
	v_mul_lo_u32 v11, s19, v4
	v_mul_lo_u32 v21, s18, v5
	v_mad_u64_u32 v[19:20], s[16:17], s18, v4, 0
	v_add3_u32 v20, v20, v21, v11
	ds_read_u16 v11, v12
	v_lshlrev_b64 v[19:20], 1, v[19:20]
	v_add_co_u32_e32 v19, vcc, v3, v19
	v_addc_co_u32_e32 v20, vcc, v10, v20, vcc
	s_waitcnt lgkmcnt(0)
	global_store_short v[19:20], v11, off
	s_or_b64 exec, exec, s[2:3]
	s_and_saveexec_b64 s[2:3], s[6:7]
	s_cbranch_execz .LBB17_108
.LBB17_144:
	v_mul_lo_u32 v11, s19, v0
	v_mul_lo_u32 v21, s18, v1
	v_mad_u64_u32 v[19:20], s[16:17], s18, v0, 0
	v_add3_u32 v20, v20, v21, v11
	ds_read_u16 v11, v12 offset:32
	v_lshlrev_b64 v[19:20], 1, v[19:20]
	v_add_co_u32_e32 v19, vcc, v3, v19
	v_addc_co_u32_e32 v20, vcc, v10, v20, vcc
	s_waitcnt lgkmcnt(0)
	global_store_short v[19:20], v11, off
	s_or_b64 exec, exec, s[2:3]
	s_and_saveexec_b64 s[2:3], s[12:13]
	s_cbranch_execz .LBB17_109
.LBB17_145:
	v_mul_lo_u32 v11, s19, v6
	v_mul_lo_u32 v21, s18, v7
	v_mad_u64_u32 v[19:20], s[16:17], s18, v6, 0
	v_add3_u32 v20, v20, v21, v11
	ds_read_u16 v11, v12 offset:64
	v_lshlrev_b64 v[19:20], 1, v[19:20]
	v_add_co_u32_e32 v19, vcc, v3, v19
	v_addc_co_u32_e32 v20, vcc, v10, v20, vcc
	s_waitcnt lgkmcnt(0)
	global_store_short v[19:20], v11, off
	s_or_b64 exec, exec, s[2:3]
	s_and_saveexec_b64 s[2:3], s[14:15]
	s_cbranch_execnz .LBB17_110
	s_branch .LBB17_111
.LBB17_146:
	v_mul_lo_u32 v10, s19, v4
	v_mul_lo_u32 v11, s18, v5
	v_mad_u64_u32 v[4:5], s[2:3], s18, v4, 0
	v_add3_u32 v5, v5, v11, v10
	ds_read_u16 v10, v12 offset:4224
	v_lshlrev_b64 v[4:5], 1, v[4:5]
	v_add_co_u32_e32 v4, vcc, v2, v4
	v_addc_co_u32_e32 v5, vcc, v3, v5, vcc
	s_waitcnt lgkmcnt(0)
	global_store_short v[4:5], v10, off
	s_or_b64 exec, exec, s[0:1]
	s_and_saveexec_b64 s[0:1], s[6:7]
	s_cbranch_execz .LBB17_123
.LBB17_147:
	v_mul_lo_u32 v4, s19, v0
	v_mul_lo_u32 v5, s18, v1
	v_mad_u64_u32 v[0:1], s[2:3], s18, v0, 0
	v_add3_u32 v1, v1, v5, v4
	ds_read_u16 v4, v12 offset:4256
	v_lshlrev_b64 v[0:1], 1, v[0:1]
	v_add_co_u32_e32 v0, vcc, v2, v0
	v_addc_co_u32_e32 v1, vcc, v3, v1, vcc
	s_waitcnt lgkmcnt(0)
	global_store_short v[0:1], v4, off
	s_or_b64 exec, exec, s[0:1]
	s_and_saveexec_b64 s[0:1], s[12:13]
	s_cbranch_execz .LBB17_124
.LBB17_148:
	v_mul_lo_u32 v4, s19, v6
	v_mul_lo_u32 v5, s18, v7
	v_mad_u64_u32 v[0:1], s[2:3], s18, v6, 0
	v_add3_u32 v1, v1, v5, v4
	ds_read_u16 v4, v12 offset:4288
	v_lshlrev_b64 v[0:1], 1, v[0:1]
	v_add_co_u32_e32 v0, vcc, v2, v0
	v_addc_co_u32_e32 v1, vcc, v3, v1, vcc
	s_waitcnt lgkmcnt(0)
	global_store_short v[0:1], v4, off
	s_or_b64 exec, exec, s[0:1]
	s_and_saveexec_b64 s[0:1], s[14:15]
	s_cbranch_execnz .LBB17_125
	s_branch .LBB17_126
	.section	.rodata,"a",@progbits
	.p2align	6, 0x0
	.amdhsa_kernel _ZL20cpy_scalar_transposeI6__halfEvPKcPclllllllllllllll
		.amdhsa_group_segment_fixed_size 8448
		.amdhsa_private_segment_fixed_size 0
		.amdhsa_kernarg_size 136
		.amdhsa_user_sgpr_count 6
		.amdhsa_user_sgpr_private_segment_buffer 1
		.amdhsa_user_sgpr_dispatch_ptr 0
		.amdhsa_user_sgpr_queue_ptr 0
		.amdhsa_user_sgpr_kernarg_segment_ptr 1
		.amdhsa_user_sgpr_dispatch_id 0
		.amdhsa_user_sgpr_flat_scratch_init 0
		.amdhsa_user_sgpr_private_segment_size 0
		.amdhsa_uses_dynamic_stack 0
		.amdhsa_system_sgpr_private_segment_wavefront_offset 0
		.amdhsa_system_sgpr_workgroup_id_x 1
		.amdhsa_system_sgpr_workgroup_id_y 1
		.amdhsa_system_sgpr_workgroup_id_z 1
		.amdhsa_system_sgpr_workgroup_info 0
		.amdhsa_system_vgpr_workitem_id 1
		.amdhsa_next_free_vgpr 29
		.amdhsa_next_free_sgpr 61
		.amdhsa_reserve_vcc 1
		.amdhsa_reserve_flat_scratch 0
		.amdhsa_float_round_mode_32 0
		.amdhsa_float_round_mode_16_64 0
		.amdhsa_float_denorm_mode_32 3
		.amdhsa_float_denorm_mode_16_64 3
		.amdhsa_dx10_clamp 1
		.amdhsa_ieee_mode 1
		.amdhsa_fp16_overflow 0
		.amdhsa_exception_fp_ieee_invalid_op 0
		.amdhsa_exception_fp_denorm_src 0
		.amdhsa_exception_fp_ieee_div_zero 0
		.amdhsa_exception_fp_ieee_overflow 0
		.amdhsa_exception_fp_ieee_underflow 0
		.amdhsa_exception_fp_ieee_inexact 0
		.amdhsa_exception_int_div_zero 0
	.end_amdhsa_kernel
	.section	.text._ZL20cpy_scalar_transposeI6__halfEvPKcPclllllllllllllll,"axG",@progbits,_ZL20cpy_scalar_transposeI6__halfEvPKcPclllllllllllllll,comdat
.Lfunc_end17:
	.size	_ZL20cpy_scalar_transposeI6__halfEvPKcPclllllllllllllll, .Lfunc_end17-_ZL20cpy_scalar_transposeI6__halfEvPKcPclllllllllllllll
                                        ; -- End function
	.set _ZL20cpy_scalar_transposeI6__halfEvPKcPclllllllllllllll.num_vgpr, 22
	.set _ZL20cpy_scalar_transposeI6__halfEvPKcPclllllllllllllll.num_agpr, 0
	.set _ZL20cpy_scalar_transposeI6__halfEvPKcPclllllllllllllll.numbered_sgpr, 35
	.set _ZL20cpy_scalar_transposeI6__halfEvPKcPclllllllllllllll.num_named_barrier, 0
	.set _ZL20cpy_scalar_transposeI6__halfEvPKcPclllllllllllllll.private_seg_size, 0
	.set _ZL20cpy_scalar_transposeI6__halfEvPKcPclllllllllllllll.uses_vcc, 1
	.set _ZL20cpy_scalar_transposeI6__halfEvPKcPclllllllllllllll.uses_flat_scratch, 0
	.set _ZL20cpy_scalar_transposeI6__halfEvPKcPclllllllllllllll.has_dyn_sized_stack, 0
	.set _ZL20cpy_scalar_transposeI6__halfEvPKcPclllllllllllllll.has_recursion, 0
	.set _ZL20cpy_scalar_transposeI6__halfEvPKcPclllllllllllllll.has_indirect_call, 0
	.section	.AMDGPU.csdata,"",@progbits
; Kernel info:
; codeLenInByte = 7540
; TotalNumSgprs: 39
; NumVgprs: 22
; ScratchSize: 0
; MemoryBound: 0
; FloatMode: 240
; IeeeMode: 1
; LDSByteSize: 8448 bytes/workgroup (compile time only)
; SGPRBlocks: 8
; VGPRBlocks: 7
; NumSGPRsForWavesPerEU: 65
; NumVGPRsForWavesPerEU: 29
; Occupancy: 8
; WaveLimiterHint : 0
; COMPUTE_PGM_RSRC2:SCRATCH_EN: 0
; COMPUTE_PGM_RSRC2:USER_SGPR: 6
; COMPUTE_PGM_RSRC2:TRAP_HANDLER: 0
; COMPUTE_PGM_RSRC2:TGID_X_EN: 1
; COMPUTE_PGM_RSRC2:TGID_Y_EN: 1
; COMPUTE_PGM_RSRC2:TGID_Z_EN: 1
; COMPUTE_PGM_RSRC2:TIDIG_COMP_CNT: 1
	.section	.text._ZL10cpy_scalarIXadL_ZL12cpy_1_scalarIf6__halfEvPKcPcEEEvS3_S4_lllllllllllllll,"axG",@progbits,_ZL10cpy_scalarIXadL_ZL12cpy_1_scalarIf6__halfEvPKcPcEEEvS3_S4_lllllllllllllll,comdat
	.globl	_ZL10cpy_scalarIXadL_ZL12cpy_1_scalarIf6__halfEvPKcPcEEEvS3_S4_lllllllllllllll ; -- Begin function _ZL10cpy_scalarIXadL_ZL12cpy_1_scalarIf6__halfEvPKcPcEEEvS3_S4_lllllllllllllll
	.p2align	8
	.type	_ZL10cpy_scalarIXadL_ZL12cpy_1_scalarIf6__halfEvPKcPcEEEvS3_S4_lllllllllllllll,@function
_ZL10cpy_scalarIXadL_ZL12cpy_1_scalarIf6__halfEvPKcPcEEEvS3_S4_lllllllllllllll: ; @_ZL10cpy_scalarIXadL_ZL12cpy_1_scalarIf6__halfEvPKcPcEEEvS3_S4_lllllllllllllll
; %bb.0:
	s_load_dword s0, s[4:5], 0x94
	v_mov_b32_e32 v2, 0
	s_load_dwordx16 s[8:23], s[4:5], 0x0
	v_mov_b32_e32 v1, v2
	v_mov_b32_e32 v3, s6
	s_waitcnt lgkmcnt(0)
	s_and_b32 s0, s0, 0xffff
	v_mad_u64_u32 v[4:5], s[0:1], s0, v3, v[0:1]
	v_cmp_gt_i64_e32 vcc, s[12:13], v[4:5]
	s_and_saveexec_b64 s[0:1], vcc
	s_cbranch_execz .LBB18_26
; %bb.1:
	s_mul_i32 s0, s16, s15
	s_mul_hi_u32 s1, s16, s14
	s_add_i32 s0, s1, s0
	s_mul_i32 s1, s17, s14
	s_mul_i32 s16, s16, s14
	s_add_i32 s17, s0, s1
	s_mul_i32 s0, s16, s19
	s_mul_hi_u32 s1, s16, s18
	s_add_i32 s0, s1, s0
	s_mul_i32 s1, s17, s18
	s_add_i32 s19, s0, s1
	v_or_b32_e32 v3, s19, v5
	v_cmp_ne_u64_e32 vcc, 0, v[2:3]
	s_mul_i32 s18, s16, s18
	v_ashrrev_i32_e32 v10, 31, v5
                                        ; implicit-def: $vgpr0_vgpr1
	s_and_saveexec_b64 s[0:1], vcc
	s_xor_b64 s[2:3], exec, s[0:1]
	s_cbranch_execz .LBB18_3
; %bb.2:
	s_ashr_i32 s6, s19, 31
	s_add_u32 s0, s18, s6
	s_mov_b32 s7, s6
	s_addc_u32 s1, s19, s6
	s_xor_b64 s[12:13], s[0:1], s[6:7]
	v_cvt_f32_u32_e32 v0, s12
	v_cvt_f32_u32_e32 v1, s13
	s_sub_u32 s7, 0, s12
	s_subb_u32 s24, 0, s13
	v_madmk_f32 v0, v1, 0x4f800000, v0
	v_rcp_f32_e32 v0, v0
	v_mul_f32_e32 v0, 0x5f7ffffc, v0
	v_mul_f32_e32 v1, 0x2f800000, v0
	v_trunc_f32_e32 v1, v1
	v_madmk_f32 v0, v1, 0xcf800000, v0
	v_cvt_u32_f32_e32 v1, v1
	v_cvt_u32_f32_e32 v0, v0
	v_readfirstlane_b32 s25, v1
	v_readfirstlane_b32 s0, v0
	s_mul_i32 s1, s7, s25
	s_mul_hi_u32 s27, s7, s0
	s_mul_i32 s26, s24, s0
	s_add_i32 s1, s27, s1
	s_add_i32 s1, s1, s26
	s_mul_i32 s28, s7, s0
	s_mul_i32 s27, s0, s1
	s_mul_hi_u32 s29, s0, s28
	s_mul_hi_u32 s26, s0, s1
	s_add_u32 s27, s29, s27
	s_addc_u32 s26, 0, s26
	s_mul_hi_u32 s30, s25, s28
	s_mul_i32 s28, s25, s28
	s_add_u32 s27, s27, s28
	s_mul_hi_u32 s29, s25, s1
	s_addc_u32 s26, s26, s30
	s_addc_u32 s27, s29, 0
	s_mul_i32 s1, s25, s1
	s_add_u32 s1, s26, s1
	s_addc_u32 s26, 0, s27
	s_add_u32 s27, s0, s1
	s_cselect_b64 s[0:1], -1, 0
	s_cmp_lg_u64 s[0:1], 0
	s_addc_u32 s25, s25, s26
	s_mul_i32 s0, s7, s25
	s_mul_hi_u32 s1, s7, s27
	s_add_i32 s0, s1, s0
	s_mul_i32 s24, s24, s27
	s_add_i32 s0, s0, s24
	s_mul_i32 s7, s7, s27
	s_mul_hi_u32 s24, s25, s7
	s_mul_i32 s26, s25, s7
	s_mul_i32 s29, s27, s0
	s_mul_hi_u32 s7, s27, s7
	s_mul_hi_u32 s28, s27, s0
	s_add_u32 s7, s7, s29
	s_addc_u32 s28, 0, s28
	s_add_u32 s7, s7, s26
	s_mul_hi_u32 s1, s25, s0
	s_addc_u32 s7, s28, s24
	s_addc_u32 s1, s1, 0
	s_mul_i32 s0, s25, s0
	s_add_u32 s0, s7, s0
	s_addc_u32 s7, 0, s1
	s_add_u32 s24, s27, s0
	s_cselect_b64 s[0:1], -1, 0
	s_cmp_lg_u64 s[0:1], 0
	v_add_co_u32_e32 v0, vcc, v4, v10
	s_addc_u32 s7, s25, s7
	v_xor_b32_e32 v6, v0, v10
	v_mad_u64_u32 v[0:1], s[0:1], v6, s7, 0
	v_mul_hi_u32 v3, v6, s24
	v_addc_co_u32_e32 v2, vcc, v5, v10, vcc
	v_xor_b32_e32 v7, v2, v10
	v_add_co_u32_e32 v8, vcc, v3, v0
	v_addc_co_u32_e32 v9, vcc, 0, v1, vcc
	v_mad_u64_u32 v[0:1], s[0:1], v7, s24, 0
	v_mad_u64_u32 v[2:3], s[0:1], v7, s7, 0
	v_add_co_u32_e32 v0, vcc, v8, v0
	v_addc_co_u32_e32 v0, vcc, v9, v1, vcc
	v_addc_co_u32_e32 v1, vcc, 0, v3, vcc
	v_add_co_u32_e32 v2, vcc, v0, v2
	v_addc_co_u32_e32 v3, vcc, 0, v1, vcc
	v_mul_lo_u32 v8, s13, v2
	v_mul_lo_u32 v9, s12, v3
	v_mad_u64_u32 v[0:1], s[0:1], s12, v2, 0
	v_add3_u32 v1, v1, v9, v8
	v_sub_u32_e32 v8, v7, v1
	v_mov_b32_e32 v9, s13
	v_sub_co_u32_e32 v0, vcc, v6, v0
	v_subb_co_u32_e64 v6, s[0:1], v8, v9, vcc
	v_subrev_co_u32_e64 v8, s[0:1], s12, v0
	v_subbrev_co_u32_e64 v6, s[0:1], 0, v6, s[0:1]
	v_cmp_le_u32_e64 s[0:1], s13, v6
	v_cndmask_b32_e64 v9, 0, -1, s[0:1]
	v_cmp_le_u32_e64 s[0:1], s12, v8
	v_cndmask_b32_e64 v8, 0, -1, s[0:1]
	v_cmp_eq_u32_e64 s[0:1], s13, v6
	v_cndmask_b32_e64 v6, v9, v8, s[0:1]
	v_add_co_u32_e64 v8, s[0:1], 2, v2
	v_subb_co_u32_e32 v1, vcc, v7, v1, vcc
	v_addc_co_u32_e64 v9, s[0:1], 0, v3, s[0:1]
	v_cmp_le_u32_e32 vcc, s13, v1
	v_add_co_u32_e64 v11, s[0:1], 1, v2
	v_cndmask_b32_e64 v7, 0, -1, vcc
	v_cmp_le_u32_e32 vcc, s12, v0
	v_addc_co_u32_e64 v12, s[0:1], 0, v3, s[0:1]
	v_cndmask_b32_e64 v0, 0, -1, vcc
	v_cmp_eq_u32_e32 vcc, s13, v1
	v_cmp_ne_u32_e64 s[0:1], 0, v6
	v_cndmask_b32_e32 v0, v7, v0, vcc
	v_cndmask_b32_e64 v6, v12, v9, s[0:1]
	v_cmp_ne_u32_e32 vcc, 0, v0
	v_cndmask_b32_e64 v1, v11, v8, s[0:1]
	v_cndmask_b32_e32 v0, v3, v6, vcc
	v_cndmask_b32_e32 v1, v2, v1, vcc
	v_xor_b32_e32 v2, s6, v10
	v_xor_b32_e32 v3, v0, v2
	;; [unrolled: 1-line block ×3, first 2 shown]
	v_sub_co_u32_e32 v0, vcc, v0, v2
	v_subb_co_u32_e32 v1, vcc, v3, v2, vcc
.LBB18_3:
	s_andn2_saveexec_b64 s[0:1], s[2:3]
	s_cbranch_execz .LBB18_5
; %bb.4:
	v_cvt_f32_u32_e32 v0, s18
	s_sub_i32 s2, 0, s18
	v_rcp_iflag_f32_e32 v0, v0
	v_mul_f32_e32 v0, 0x4f7ffffe, v0
	v_cvt_u32_f32_e32 v0, v0
	v_mul_lo_u32 v1, s2, v0
	v_mul_hi_u32 v1, v0, v1
	v_add_u32_e32 v0, v0, v1
	v_mul_hi_u32 v0, v4, v0
	v_mul_lo_u32 v1, v0, s18
	v_add_u32_e32 v2, 1, v0
	v_sub_u32_e32 v1, v4, v1
	v_subrev_u32_e32 v3, s18, v1
	v_cmp_le_u32_e32 vcc, s18, v1
	v_cndmask_b32_e32 v1, v1, v3, vcc
	v_cndmask_b32_e32 v0, v0, v2, vcc
	v_add_u32_e32 v2, 1, v0
	v_cmp_le_u32_e32 vcc, s18, v1
	v_cndmask_b32_e32 v0, v0, v2, vcc
	v_mov_b32_e32 v1, 0
.LBB18_5:
	s_or_b64 exec, exec, s[0:1]
	v_mul_lo_u32 v6, s19, v0
	v_mul_lo_u32 v7, s18, v1
	v_mad_u64_u32 v[2:3], s[0:1], s18, v0, 0
	v_add3_u32 v3, v3, v7, v6
	v_sub_co_u32_e32 v6, vcc, v4, v2
	v_subb_co_u32_e32 v7, vcc, v5, v3, vcc
	v_or_b32_e32 v3, s17, v7
	v_mov_b32_e32 v2, 0
	v_cmp_ne_u64_e32 vcc, 0, v[2:3]
                                        ; implicit-def: $vgpr2_vgpr3
	s_and_saveexec_b64 s[0:1], vcc
	s_xor_b64 s[2:3], exec, s[0:1]
	s_cbranch_execz .LBB18_7
; %bb.6:
	s_ashr_i32 s6, s17, 31
	s_add_u32 s0, s16, s6
	s_mov_b32 s7, s6
	s_addc_u32 s1, s17, s6
	s_xor_b64 s[12:13], s[0:1], s[6:7]
	v_cvt_f32_u32_e32 v2, s12
	v_cvt_f32_u32_e32 v3, s13
	s_sub_u32 s7, 0, s12
	s_subb_u32 s18, 0, s13
	v_ashrrev_i32_e32 v11, 31, v7
	v_madmk_f32 v2, v3, 0x4f800000, v2
	v_rcp_f32_e32 v2, v2
	v_mul_f32_e32 v2, 0x5f7ffffc, v2
	v_mul_f32_e32 v3, 0x2f800000, v2
	v_trunc_f32_e32 v3, v3
	v_madmk_f32 v2, v3, 0xcf800000, v2
	v_cvt_u32_f32_e32 v3, v3
	v_cvt_u32_f32_e32 v2, v2
	v_readfirstlane_b32 s19, v3
	v_readfirstlane_b32 s0, v2
	s_mul_i32 s1, s7, s19
	s_mul_hi_u32 s25, s7, s0
	s_mul_i32 s24, s18, s0
	s_add_i32 s1, s25, s1
	s_add_i32 s1, s1, s24
	s_mul_i32 s26, s7, s0
	s_mul_i32 s25, s0, s1
	s_mul_hi_u32 s27, s0, s26
	s_mul_hi_u32 s24, s0, s1
	s_add_u32 s25, s27, s25
	s_addc_u32 s24, 0, s24
	s_mul_hi_u32 s28, s19, s26
	s_mul_i32 s26, s19, s26
	s_add_u32 s25, s25, s26
	s_mul_hi_u32 s27, s19, s1
	s_addc_u32 s24, s24, s28
	s_addc_u32 s25, s27, 0
	s_mul_i32 s1, s19, s1
	s_add_u32 s1, s24, s1
	s_addc_u32 s24, 0, s25
	s_add_u32 s25, s0, s1
	s_cselect_b64 s[0:1], -1, 0
	s_cmp_lg_u64 s[0:1], 0
	s_addc_u32 s19, s19, s24
	s_mul_i32 s0, s7, s19
	s_mul_hi_u32 s1, s7, s25
	s_add_i32 s0, s1, s0
	s_mul_i32 s18, s18, s25
	s_add_i32 s0, s0, s18
	s_mul_i32 s7, s7, s25
	s_mul_hi_u32 s18, s19, s7
	s_mul_i32 s24, s19, s7
	s_mul_i32 s27, s25, s0
	s_mul_hi_u32 s7, s25, s7
	s_mul_hi_u32 s26, s25, s0
	s_add_u32 s7, s7, s27
	s_addc_u32 s26, 0, s26
	s_add_u32 s7, s7, s24
	s_mul_hi_u32 s1, s19, s0
	s_addc_u32 s7, s26, s18
	s_addc_u32 s1, s1, 0
	s_mul_i32 s0, s19, s0
	s_add_u32 s0, s7, s0
	s_addc_u32 s7, 0, s1
	s_add_u32 s18, s25, s0
	s_cselect_b64 s[0:1], -1, 0
	s_cmp_lg_u64 s[0:1], 0
	v_add_co_u32_e32 v2, vcc, v6, v11
	s_addc_u32 s7, s19, s7
	v_xor_b32_e32 v12, v2, v11
	v_mad_u64_u32 v[2:3], s[0:1], v12, s7, 0
	v_mul_hi_u32 v9, v12, s18
	v_addc_co_u32_e32 v8, vcc, v7, v11, vcc
	v_xor_b32_e32 v13, v8, v11
	v_add_co_u32_e32 v14, vcc, v9, v2
	v_addc_co_u32_e32 v15, vcc, 0, v3, vcc
	v_mad_u64_u32 v[2:3], s[0:1], v13, s18, 0
	v_mad_u64_u32 v[8:9], s[0:1], v13, s7, 0
	v_add_co_u32_e32 v2, vcc, v14, v2
	v_addc_co_u32_e32 v2, vcc, v15, v3, vcc
	v_addc_co_u32_e32 v3, vcc, 0, v9, vcc
	v_add_co_u32_e32 v8, vcc, v2, v8
	v_addc_co_u32_e32 v9, vcc, 0, v3, vcc
	v_mul_lo_u32 v14, s13, v8
	v_mul_lo_u32 v15, s12, v9
	v_mad_u64_u32 v[2:3], s[0:1], s12, v8, 0
	v_add3_u32 v3, v3, v15, v14
	v_sub_u32_e32 v14, v13, v3
	v_mov_b32_e32 v15, s13
	v_sub_co_u32_e32 v2, vcc, v12, v2
	v_subb_co_u32_e64 v12, s[0:1], v14, v15, vcc
	v_subrev_co_u32_e64 v14, s[0:1], s12, v2
	v_subbrev_co_u32_e64 v12, s[0:1], 0, v12, s[0:1]
	v_cmp_le_u32_e64 s[0:1], s13, v12
	v_cndmask_b32_e64 v15, 0, -1, s[0:1]
	v_cmp_le_u32_e64 s[0:1], s12, v14
	v_cndmask_b32_e64 v14, 0, -1, s[0:1]
	v_cmp_eq_u32_e64 s[0:1], s13, v12
	v_cndmask_b32_e64 v12, v15, v14, s[0:1]
	v_add_co_u32_e64 v14, s[0:1], 2, v8
	v_subb_co_u32_e32 v3, vcc, v13, v3, vcc
	v_addc_co_u32_e64 v15, s[0:1], 0, v9, s[0:1]
	v_cmp_le_u32_e32 vcc, s13, v3
	v_add_co_u32_e64 v16, s[0:1], 1, v8
	v_cndmask_b32_e64 v13, 0, -1, vcc
	v_cmp_le_u32_e32 vcc, s12, v2
	v_addc_co_u32_e64 v17, s[0:1], 0, v9, s[0:1]
	v_cndmask_b32_e64 v2, 0, -1, vcc
	v_cmp_eq_u32_e32 vcc, s13, v3
	v_cmp_ne_u32_e64 s[0:1], 0, v12
	v_cndmask_b32_e32 v2, v13, v2, vcc
	v_cndmask_b32_e64 v12, v17, v15, s[0:1]
	v_cmp_ne_u32_e32 vcc, 0, v2
	v_cndmask_b32_e64 v3, v16, v14, s[0:1]
	v_cndmask_b32_e32 v2, v9, v12, vcc
	v_cndmask_b32_e32 v3, v8, v3, vcc
	v_xor_b32_e32 v8, s6, v11
	v_xor_b32_e32 v9, v2, v8
	;; [unrolled: 1-line block ×3, first 2 shown]
	v_sub_co_u32_e32 v2, vcc, v2, v8
	v_subb_co_u32_e32 v3, vcc, v9, v8, vcc
.LBB18_7:
	s_andn2_saveexec_b64 s[0:1], s[2:3]
	s_cbranch_execz .LBB18_9
; %bb.8:
	v_cvt_f32_u32_e32 v2, s16
	s_sub_i32 s2, 0, s16
	v_rcp_iflag_f32_e32 v2, v2
	v_mul_f32_e32 v2, 0x4f7ffffe, v2
	v_cvt_u32_f32_e32 v2, v2
	v_mul_lo_u32 v3, s2, v2
	v_mul_hi_u32 v3, v2, v3
	v_add_u32_e32 v2, v2, v3
	v_mul_hi_u32 v2, v6, v2
	v_mul_lo_u32 v3, v2, s16
	v_add_u32_e32 v8, 1, v2
	v_sub_u32_e32 v3, v6, v3
	v_subrev_u32_e32 v9, s16, v3
	v_cmp_le_u32_e32 vcc, s16, v3
	v_cndmask_b32_e32 v3, v3, v9, vcc
	v_cndmask_b32_e32 v2, v2, v8, vcc
	v_add_u32_e32 v8, 1, v2
	v_cmp_le_u32_e32 vcc, s16, v3
	v_cndmask_b32_e32 v2, v2, v8, vcc
	v_mov_b32_e32 v3, 0
.LBB18_9:
	s_or_b64 exec, exec, s[0:1]
	v_mul_lo_u32 v11, s17, v2
	v_mul_lo_u32 v12, s16, v3
	v_mad_u64_u32 v[8:9], s[0:1], s16, v2, 0
	v_add3_u32 v9, v9, v12, v11
	v_sub_co_u32_e32 v12, vcc, v6, v8
	v_subb_co_u32_e32 v13, vcc, v7, v9, vcc
	v_or_b32_e32 v7, s15, v13
	v_mov_b32_e32 v6, 0
	v_cmp_ne_u64_e32 vcc, 0, v[6:7]
                                        ; implicit-def: $vgpr6_vgpr7
	s_and_saveexec_b64 s[0:1], vcc
	s_xor_b64 s[2:3], exec, s[0:1]
	s_cbranch_execz .LBB18_11
; %bb.10:
	s_ashr_i32 s6, s15, 31
	s_add_u32 s0, s14, s6
	s_mov_b32 s7, s6
	s_addc_u32 s1, s15, s6
	s_xor_b64 s[12:13], s[0:1], s[6:7]
	v_cvt_f32_u32_e32 v6, s12
	v_cvt_f32_u32_e32 v7, s13
	s_sub_u32 s7, 0, s12
	s_subb_u32 s16, 0, s13
	v_ashrrev_i32_e32 v11, 31, v13
	v_madmk_f32 v6, v7, 0x4f800000, v6
	v_rcp_f32_e32 v6, v6
	v_mul_f32_e32 v6, 0x5f7ffffc, v6
	v_mul_f32_e32 v7, 0x2f800000, v6
	v_trunc_f32_e32 v7, v7
	v_madmk_f32 v6, v7, 0xcf800000, v6
	v_cvt_u32_f32_e32 v7, v7
	v_cvt_u32_f32_e32 v6, v6
	v_readfirstlane_b32 s17, v7
	v_readfirstlane_b32 s0, v6
	s_mul_i32 s1, s7, s17
	s_mul_hi_u32 s19, s7, s0
	s_mul_i32 s18, s16, s0
	s_add_i32 s1, s19, s1
	s_add_i32 s1, s1, s18
	s_mul_i32 s24, s7, s0
	s_mul_i32 s19, s0, s1
	s_mul_hi_u32 s25, s0, s24
	s_mul_hi_u32 s18, s0, s1
	s_add_u32 s19, s25, s19
	s_addc_u32 s18, 0, s18
	s_mul_hi_u32 s26, s17, s24
	s_mul_i32 s24, s17, s24
	s_add_u32 s19, s19, s24
	s_mul_hi_u32 s25, s17, s1
	s_addc_u32 s18, s18, s26
	s_addc_u32 s19, s25, 0
	s_mul_i32 s1, s17, s1
	s_add_u32 s1, s18, s1
	s_addc_u32 s18, 0, s19
	s_add_u32 s19, s0, s1
	s_cselect_b64 s[0:1], -1, 0
	s_cmp_lg_u64 s[0:1], 0
	s_addc_u32 s17, s17, s18
	s_mul_i32 s0, s7, s17
	s_mul_hi_u32 s1, s7, s19
	s_add_i32 s0, s1, s0
	s_mul_i32 s16, s16, s19
	s_add_i32 s0, s0, s16
	s_mul_i32 s7, s7, s19
	s_mul_hi_u32 s16, s17, s7
	s_mul_i32 s18, s17, s7
	s_mul_i32 s25, s19, s0
	s_mul_hi_u32 s7, s19, s7
	s_mul_hi_u32 s24, s19, s0
	s_add_u32 s7, s7, s25
	s_addc_u32 s24, 0, s24
	s_add_u32 s7, s7, s18
	s_mul_hi_u32 s1, s17, s0
	s_addc_u32 s7, s24, s16
	s_addc_u32 s1, s1, 0
	s_mul_i32 s0, s17, s0
	s_add_u32 s0, s7, s0
	s_addc_u32 s7, 0, s1
	s_add_u32 s16, s19, s0
	s_cselect_b64 s[0:1], -1, 0
	s_cmp_lg_u64 s[0:1], 0
	v_add_co_u32_e32 v6, vcc, v12, v11
	s_addc_u32 s7, s17, s7
	v_xor_b32_e32 v14, v6, v11
	v_mad_u64_u32 v[6:7], s[0:1], v14, s7, 0
	v_mul_hi_u32 v9, v14, s16
	v_addc_co_u32_e32 v8, vcc, v13, v11, vcc
	v_xor_b32_e32 v15, v8, v11
	v_add_co_u32_e32 v16, vcc, v9, v6
	v_addc_co_u32_e32 v17, vcc, 0, v7, vcc
	v_mad_u64_u32 v[6:7], s[0:1], v15, s16, 0
	v_mad_u64_u32 v[8:9], s[0:1], v15, s7, 0
	v_add_co_u32_e32 v6, vcc, v16, v6
	v_addc_co_u32_e32 v6, vcc, v17, v7, vcc
	v_addc_co_u32_e32 v7, vcc, 0, v9, vcc
	v_add_co_u32_e32 v8, vcc, v6, v8
	v_addc_co_u32_e32 v9, vcc, 0, v7, vcc
	v_mul_lo_u32 v16, s13, v8
	v_mul_lo_u32 v17, s12, v9
	v_mad_u64_u32 v[6:7], s[0:1], s12, v8, 0
	v_add3_u32 v7, v7, v17, v16
	v_sub_u32_e32 v16, v15, v7
	v_mov_b32_e32 v17, s13
	v_sub_co_u32_e32 v6, vcc, v14, v6
	v_subb_co_u32_e64 v14, s[0:1], v16, v17, vcc
	v_subrev_co_u32_e64 v16, s[0:1], s12, v6
	v_subbrev_co_u32_e64 v14, s[0:1], 0, v14, s[0:1]
	v_cmp_le_u32_e64 s[0:1], s13, v14
	v_cndmask_b32_e64 v17, 0, -1, s[0:1]
	v_cmp_le_u32_e64 s[0:1], s12, v16
	v_cndmask_b32_e64 v16, 0, -1, s[0:1]
	v_cmp_eq_u32_e64 s[0:1], s13, v14
	v_cndmask_b32_e64 v14, v17, v16, s[0:1]
	v_add_co_u32_e64 v16, s[0:1], 2, v8
	v_subb_co_u32_e32 v7, vcc, v15, v7, vcc
	v_addc_co_u32_e64 v17, s[0:1], 0, v9, s[0:1]
	v_cmp_le_u32_e32 vcc, s13, v7
	v_add_co_u32_e64 v18, s[0:1], 1, v8
	v_cndmask_b32_e64 v15, 0, -1, vcc
	v_cmp_le_u32_e32 vcc, s12, v6
	v_addc_co_u32_e64 v19, s[0:1], 0, v9, s[0:1]
	v_cndmask_b32_e64 v6, 0, -1, vcc
	v_cmp_eq_u32_e32 vcc, s13, v7
	v_cmp_ne_u32_e64 s[0:1], 0, v14
	v_cndmask_b32_e32 v6, v15, v6, vcc
	v_cndmask_b32_e64 v14, v19, v17, s[0:1]
	v_cmp_ne_u32_e32 vcc, 0, v6
	v_cndmask_b32_e64 v7, v18, v16, s[0:1]
	v_cndmask_b32_e32 v6, v9, v14, vcc
	v_cndmask_b32_e32 v7, v8, v7, vcc
	v_xor_b32_e32 v8, s6, v11
	v_xor_b32_e32 v9, v6, v8
	;; [unrolled: 1-line block ×3, first 2 shown]
	v_sub_co_u32_e32 v6, vcc, v6, v8
	v_subb_co_u32_e32 v7, vcc, v9, v8, vcc
.LBB18_11:
	s_andn2_saveexec_b64 s[0:1], s[2:3]
	s_cbranch_execz .LBB18_13
; %bb.12:
	v_cvt_f32_u32_e32 v6, s14
	s_sub_i32 s2, 0, s14
	v_rcp_iflag_f32_e32 v6, v6
	v_mul_f32_e32 v6, 0x4f7ffffe, v6
	v_cvt_u32_f32_e32 v6, v6
	v_mul_lo_u32 v7, s2, v6
	v_mul_hi_u32 v7, v6, v7
	v_add_u32_e32 v6, v6, v7
	v_mul_hi_u32 v6, v12, v6
	v_mul_lo_u32 v7, v6, s14
	v_add_u32_e32 v8, 1, v6
	v_sub_u32_e32 v7, v12, v7
	v_subrev_u32_e32 v9, s14, v7
	v_cmp_le_u32_e32 vcc, s14, v7
	v_cndmask_b32_e32 v7, v7, v9, vcc
	v_cndmask_b32_e32 v6, v6, v8, vcc
	v_add_u32_e32 v8, 1, v6
	v_cmp_le_u32_e32 vcc, s14, v7
	v_cndmask_b32_e32 v6, v6, v8, vcc
	v_mov_b32_e32 v7, 0
.LBB18_13:
	s_or_b64 exec, exec, s[0:1]
	s_load_dwordx16 s[36:51], s[4:5], 0x40
	v_mov_b32_e32 v8, 0
	s_waitcnt lgkmcnt(0)
	s_mul_i32 s0, s42, s41
	s_mul_hi_u32 s1, s42, s40
	s_mul_i32 s2, s43, s40
	s_mul_i32 s16, s42, s40
	s_add_i32 s17, s1, s0
	s_mul_i32 s0, s16, s45
	s_add_i32 s17, s17, s2
	s_mul_hi_u32 s1, s16, s44
	s_add_i32 s0, s1, s0
	s_mul_i32 s1, s17, s44
	s_add_i32 s18, s0, s1
	v_or_b32_e32 v9, s18, v5
	v_cmp_ne_u64_e32 vcc, 0, v[8:9]
	s_mul_i32 s19, s16, s44
                                        ; implicit-def: $vgpr8_vgpr9
	s_and_saveexec_b64 s[0:1], vcc
	s_xor_b64 s[2:3], exec, s[0:1]
	s_cbranch_execz .LBB18_15
; %bb.14:
	s_ashr_i32 s6, s18, 31
	s_add_u32 s0, s19, s6
	s_mov_b32 s7, s6
	s_addc_u32 s1, s18, s6
	s_xor_b64 s[12:13], s[0:1], s[6:7]
	v_cvt_f32_u32_e32 v8, s12
	v_cvt_f32_u32_e32 v9, s13
	s_sub_u32 s7, 0, s12
	s_subb_u32 s24, 0, s13
	v_madmk_f32 v8, v9, 0x4f800000, v8
	v_rcp_f32_e32 v8, v8
	v_mul_f32_e32 v8, 0x5f7ffffc, v8
	v_mul_f32_e32 v9, 0x2f800000, v8
	v_trunc_f32_e32 v9, v9
	v_madmk_f32 v8, v9, 0xcf800000, v8
	v_cvt_u32_f32_e32 v9, v9
	v_cvt_u32_f32_e32 v8, v8
	v_readfirstlane_b32 s25, v9
	v_readfirstlane_b32 s0, v8
	s_mul_i32 s1, s7, s25
	s_mul_hi_u32 s27, s7, s0
	s_mul_i32 s26, s24, s0
	s_add_i32 s1, s27, s1
	s_add_i32 s1, s1, s26
	s_mul_i32 s28, s7, s0
	s_mul_i32 s27, s0, s1
	s_mul_hi_u32 s29, s0, s28
	s_mul_hi_u32 s26, s0, s1
	s_add_u32 s27, s29, s27
	s_addc_u32 s26, 0, s26
	s_mul_hi_u32 s30, s25, s28
	s_mul_i32 s28, s25, s28
	s_add_u32 s27, s27, s28
	s_mul_hi_u32 s29, s25, s1
	s_addc_u32 s26, s26, s30
	s_addc_u32 s27, s29, 0
	s_mul_i32 s1, s25, s1
	s_add_u32 s1, s26, s1
	s_addc_u32 s26, 0, s27
	s_add_u32 s27, s0, s1
	s_cselect_b64 s[0:1], -1, 0
	s_cmp_lg_u64 s[0:1], 0
	s_addc_u32 s25, s25, s26
	s_mul_i32 s0, s7, s25
	s_mul_hi_u32 s1, s7, s27
	s_add_i32 s0, s1, s0
	s_mul_i32 s24, s24, s27
	s_add_i32 s0, s0, s24
	s_mul_i32 s7, s7, s27
	s_mul_hi_u32 s24, s25, s7
	s_mul_i32 s26, s25, s7
	s_mul_i32 s29, s27, s0
	s_mul_hi_u32 s7, s27, s7
	s_mul_hi_u32 s28, s27, s0
	s_add_u32 s7, s7, s29
	s_addc_u32 s28, 0, s28
	s_add_u32 s7, s7, s26
	s_mul_hi_u32 s1, s25, s0
	s_addc_u32 s7, s28, s24
	s_addc_u32 s1, s1, 0
	s_mul_i32 s0, s25, s0
	s_add_u32 s0, s7, s0
	s_addc_u32 s7, 0, s1
	s_add_u32 s24, s27, s0
	s_cselect_b64 s[0:1], -1, 0
	s_cmp_lg_u64 s[0:1], 0
	v_add_co_u32_e32 v8, vcc, v4, v10
	s_addc_u32 s7, s25, s7
	v_xor_b32_e32 v16, v8, v10
	v_mad_u64_u32 v[8:9], s[0:1], v16, s7, 0
	v_mul_hi_u32 v14, v16, s24
	v_addc_co_u32_e32 v11, vcc, v5, v10, vcc
	v_xor_b32_e32 v11, v11, v10
	v_add_co_u32_e32 v17, vcc, v14, v8
	v_addc_co_u32_e32 v18, vcc, 0, v9, vcc
	v_mad_u64_u32 v[8:9], s[0:1], v11, s24, 0
	v_mad_u64_u32 v[14:15], s[0:1], v11, s7, 0
	v_add_co_u32_e32 v8, vcc, v17, v8
	v_addc_co_u32_e32 v8, vcc, v18, v9, vcc
	v_addc_co_u32_e32 v9, vcc, 0, v15, vcc
	v_add_co_u32_e32 v14, vcc, v8, v14
	v_addc_co_u32_e32 v15, vcc, 0, v9, vcc
	v_mul_lo_u32 v17, s13, v14
	v_mul_lo_u32 v18, s12, v15
	v_mad_u64_u32 v[8:9], s[0:1], s12, v14, 0
	v_xor_b32_e32 v10, s6, v10
	v_add3_u32 v9, v9, v18, v17
	v_sub_u32_e32 v17, v11, v9
	v_mov_b32_e32 v18, s13
	v_sub_co_u32_e32 v8, vcc, v16, v8
	v_subb_co_u32_e64 v16, s[0:1], v17, v18, vcc
	v_subrev_co_u32_e64 v17, s[0:1], s12, v8
	v_subbrev_co_u32_e64 v16, s[0:1], 0, v16, s[0:1]
	v_cmp_le_u32_e64 s[0:1], s13, v16
	v_cndmask_b32_e64 v18, 0, -1, s[0:1]
	v_cmp_le_u32_e64 s[0:1], s12, v17
	v_cndmask_b32_e64 v17, 0, -1, s[0:1]
	v_cmp_eq_u32_e64 s[0:1], s13, v16
	v_cndmask_b32_e64 v16, v18, v17, s[0:1]
	v_add_co_u32_e64 v17, s[0:1], 2, v14
	v_subb_co_u32_e32 v9, vcc, v11, v9, vcc
	v_addc_co_u32_e64 v18, s[0:1], 0, v15, s[0:1]
	v_cmp_le_u32_e32 vcc, s13, v9
	v_add_co_u32_e64 v19, s[0:1], 1, v14
	v_cndmask_b32_e64 v11, 0, -1, vcc
	v_cmp_le_u32_e32 vcc, s12, v8
	v_addc_co_u32_e64 v20, s[0:1], 0, v15, s[0:1]
	v_cndmask_b32_e64 v8, 0, -1, vcc
	v_cmp_eq_u32_e32 vcc, s13, v9
	v_cmp_ne_u32_e64 s[0:1], 0, v16
	v_cndmask_b32_e32 v8, v11, v8, vcc
	v_cndmask_b32_e64 v16, v20, v18, s[0:1]
	v_cmp_ne_u32_e32 vcc, 0, v8
	v_cndmask_b32_e64 v9, v19, v17, s[0:1]
	v_cndmask_b32_e32 v8, v15, v16, vcc
	v_cndmask_b32_e32 v9, v14, v9, vcc
	v_xor_b32_e32 v11, v8, v10
	v_xor_b32_e32 v8, v9, v10
	v_sub_co_u32_e32 v8, vcc, v8, v10
	v_subb_co_u32_e32 v9, vcc, v11, v10, vcc
.LBB18_15:
	s_andn2_saveexec_b64 s[0:1], s[2:3]
	s_cbranch_execz .LBB18_17
; %bb.16:
	v_cvt_f32_u32_e32 v8, s19
	s_sub_i32 s2, 0, s19
	v_rcp_iflag_f32_e32 v8, v8
	v_mul_f32_e32 v8, 0x4f7ffffe, v8
	v_cvt_u32_f32_e32 v8, v8
	v_mul_lo_u32 v9, s2, v8
	v_mul_hi_u32 v9, v8, v9
	v_add_u32_e32 v8, v8, v9
	v_mul_hi_u32 v8, v4, v8
	v_mul_lo_u32 v9, v8, s19
	v_add_u32_e32 v10, 1, v8
	v_sub_u32_e32 v9, v4, v9
	v_subrev_u32_e32 v11, s19, v9
	v_cmp_le_u32_e32 vcc, s19, v9
	v_cndmask_b32_e32 v9, v9, v11, vcc
	v_cndmask_b32_e32 v8, v8, v10, vcc
	v_add_u32_e32 v10, 1, v8
	v_cmp_le_u32_e32 vcc, s19, v9
	v_cndmask_b32_e32 v8, v8, v10, vcc
	v_mov_b32_e32 v9, 0
.LBB18_17:
	s_or_b64 exec, exec, s[0:1]
	v_mul_lo_u32 v14, s18, v8
	v_mul_lo_u32 v15, s19, v9
	v_mad_u64_u32 v[10:11], s[0:1], s19, v8, 0
	v_add3_u32 v11, v11, v15, v14
	v_sub_co_u32_e32 v10, vcc, v4, v10
	v_subb_co_u32_e32 v11, vcc, v5, v11, vcc
	v_or_b32_e32 v5, s17, v11
	v_mov_b32_e32 v4, 0
	v_cmp_ne_u64_e32 vcc, 0, v[4:5]
                                        ; implicit-def: $vgpr4_vgpr5
	s_and_saveexec_b64 s[0:1], vcc
	s_xor_b64 s[2:3], exec, s[0:1]
	s_cbranch_execz .LBB18_19
; %bb.18:
	s_ashr_i32 s6, s17, 31
	s_add_u32 s0, s16, s6
	s_mov_b32 s7, s6
	s_addc_u32 s1, s17, s6
	s_xor_b64 s[12:13], s[0:1], s[6:7]
	v_cvt_f32_u32_e32 v4, s12
	v_cvt_f32_u32_e32 v5, s13
	s_sub_u32 s7, 0, s12
	s_subb_u32 s18, 0, s13
	v_ashrrev_i32_e32 v16, 31, v11
	v_madmk_f32 v4, v5, 0x4f800000, v4
	v_rcp_f32_e32 v4, v4
	v_mul_f32_e32 v4, 0x5f7ffffc, v4
	v_mul_f32_e32 v5, 0x2f800000, v4
	v_trunc_f32_e32 v5, v5
	v_madmk_f32 v4, v5, 0xcf800000, v4
	v_cvt_u32_f32_e32 v5, v5
	v_cvt_u32_f32_e32 v4, v4
	v_readfirstlane_b32 s19, v5
	v_readfirstlane_b32 s0, v4
	s_mul_i32 s1, s7, s19
	s_mul_hi_u32 s25, s7, s0
	s_mul_i32 s24, s18, s0
	s_add_i32 s1, s25, s1
	s_add_i32 s1, s1, s24
	s_mul_i32 s26, s7, s0
	s_mul_i32 s25, s0, s1
	s_mul_hi_u32 s27, s0, s26
	s_mul_hi_u32 s24, s0, s1
	s_add_u32 s25, s27, s25
	s_addc_u32 s24, 0, s24
	s_mul_hi_u32 s28, s19, s26
	s_mul_i32 s26, s19, s26
	s_add_u32 s25, s25, s26
	s_mul_hi_u32 s27, s19, s1
	s_addc_u32 s24, s24, s28
	s_addc_u32 s25, s27, 0
	s_mul_i32 s1, s19, s1
	s_add_u32 s1, s24, s1
	s_addc_u32 s24, 0, s25
	s_add_u32 s25, s0, s1
	s_cselect_b64 s[0:1], -1, 0
	s_cmp_lg_u64 s[0:1], 0
	s_addc_u32 s19, s19, s24
	s_mul_i32 s0, s7, s19
	s_mul_hi_u32 s1, s7, s25
	s_add_i32 s0, s1, s0
	s_mul_i32 s18, s18, s25
	s_add_i32 s0, s0, s18
	s_mul_i32 s7, s7, s25
	s_mul_hi_u32 s18, s19, s7
	s_mul_i32 s24, s19, s7
	s_mul_i32 s27, s25, s0
	s_mul_hi_u32 s7, s25, s7
	s_mul_hi_u32 s26, s25, s0
	s_add_u32 s7, s7, s27
	s_addc_u32 s26, 0, s26
	s_add_u32 s7, s7, s24
	s_mul_hi_u32 s1, s19, s0
	s_addc_u32 s7, s26, s18
	s_addc_u32 s1, s1, 0
	s_mul_i32 s0, s19, s0
	s_add_u32 s0, s7, s0
	s_addc_u32 s7, 0, s1
	s_add_u32 s18, s25, s0
	s_cselect_b64 s[0:1], -1, 0
	s_cmp_lg_u64 s[0:1], 0
	v_add_co_u32_e32 v4, vcc, v10, v16
	s_addc_u32 s7, s19, s7
	v_xor_b32_e32 v17, v4, v16
	v_mad_u64_u32 v[4:5], s[0:1], v17, s7, 0
	v_mul_hi_u32 v15, v17, s18
	v_addc_co_u32_e32 v14, vcc, v11, v16, vcc
	v_xor_b32_e32 v18, v14, v16
	v_add_co_u32_e32 v19, vcc, v15, v4
	v_addc_co_u32_e32 v20, vcc, 0, v5, vcc
	v_mad_u64_u32 v[4:5], s[0:1], v18, s18, 0
	v_mad_u64_u32 v[14:15], s[0:1], v18, s7, 0
	v_add_co_u32_e32 v4, vcc, v19, v4
	v_addc_co_u32_e32 v4, vcc, v20, v5, vcc
	v_addc_co_u32_e32 v5, vcc, 0, v15, vcc
	v_add_co_u32_e32 v14, vcc, v4, v14
	v_addc_co_u32_e32 v15, vcc, 0, v5, vcc
	v_mul_lo_u32 v19, s13, v14
	v_mul_lo_u32 v20, s12, v15
	v_mad_u64_u32 v[4:5], s[0:1], s12, v14, 0
	v_add3_u32 v5, v5, v20, v19
	v_sub_u32_e32 v19, v18, v5
	v_mov_b32_e32 v20, s13
	v_sub_co_u32_e32 v4, vcc, v17, v4
	v_subb_co_u32_e64 v17, s[0:1], v19, v20, vcc
	v_subrev_co_u32_e64 v19, s[0:1], s12, v4
	v_subbrev_co_u32_e64 v17, s[0:1], 0, v17, s[0:1]
	v_cmp_le_u32_e64 s[0:1], s13, v17
	v_cndmask_b32_e64 v20, 0, -1, s[0:1]
	v_cmp_le_u32_e64 s[0:1], s12, v19
	v_cndmask_b32_e64 v19, 0, -1, s[0:1]
	v_cmp_eq_u32_e64 s[0:1], s13, v17
	v_cndmask_b32_e64 v17, v20, v19, s[0:1]
	v_add_co_u32_e64 v19, s[0:1], 2, v14
	v_subb_co_u32_e32 v5, vcc, v18, v5, vcc
	v_addc_co_u32_e64 v20, s[0:1], 0, v15, s[0:1]
	v_cmp_le_u32_e32 vcc, s13, v5
	v_add_co_u32_e64 v21, s[0:1], 1, v14
	v_cndmask_b32_e64 v18, 0, -1, vcc
	v_cmp_le_u32_e32 vcc, s12, v4
	v_addc_co_u32_e64 v22, s[0:1], 0, v15, s[0:1]
	v_cndmask_b32_e64 v4, 0, -1, vcc
	v_cmp_eq_u32_e32 vcc, s13, v5
	v_cmp_ne_u32_e64 s[0:1], 0, v17
	v_cndmask_b32_e32 v4, v18, v4, vcc
	v_cndmask_b32_e64 v17, v22, v20, s[0:1]
	v_cmp_ne_u32_e32 vcc, 0, v4
	v_cndmask_b32_e64 v5, v21, v19, s[0:1]
	v_cndmask_b32_e32 v4, v15, v17, vcc
	v_cndmask_b32_e32 v5, v14, v5, vcc
	v_xor_b32_e32 v14, s6, v16
	v_xor_b32_e32 v15, v4, v14
	;; [unrolled: 1-line block ×3, first 2 shown]
	v_sub_co_u32_e32 v4, vcc, v4, v14
	v_subb_co_u32_e32 v5, vcc, v15, v14, vcc
.LBB18_19:
	s_andn2_saveexec_b64 s[0:1], s[2:3]
	s_cbranch_execz .LBB18_21
; %bb.20:
	v_cvt_f32_u32_e32 v4, s16
	s_sub_i32 s2, 0, s16
	v_rcp_iflag_f32_e32 v4, v4
	v_mul_f32_e32 v4, 0x4f7ffffe, v4
	v_cvt_u32_f32_e32 v4, v4
	v_mul_lo_u32 v5, s2, v4
	v_mul_hi_u32 v5, v4, v5
	v_add_u32_e32 v4, v4, v5
	v_mul_hi_u32 v4, v10, v4
	v_mul_lo_u32 v5, v4, s16
	v_add_u32_e32 v14, 1, v4
	v_sub_u32_e32 v5, v10, v5
	v_subrev_u32_e32 v15, s16, v5
	v_cmp_le_u32_e32 vcc, s16, v5
	v_cndmask_b32_e32 v5, v5, v15, vcc
	v_cndmask_b32_e32 v4, v4, v14, vcc
	v_add_u32_e32 v14, 1, v4
	v_cmp_le_u32_e32 vcc, s16, v5
	v_cndmask_b32_e32 v4, v4, v14, vcc
	v_mov_b32_e32 v5, 0
.LBB18_21:
	s_or_b64 exec, exec, s[0:1]
	v_mul_lo_u32 v16, s17, v4
	v_mul_lo_u32 v17, s16, v5
	v_mad_u64_u32 v[14:15], s[0:1], s16, v4, 0
	v_add3_u32 v15, v15, v17, v16
	v_sub_co_u32_e32 v14, vcc, v10, v14
	v_subb_co_u32_e32 v15, vcc, v11, v15, vcc
	v_or_b32_e32 v11, s41, v15
	v_mov_b32_e32 v10, 0
	v_cmp_ne_u64_e32 vcc, 0, v[10:11]
                                        ; implicit-def: $vgpr10_vgpr11
	s_and_saveexec_b64 s[0:1], vcc
	s_xor_b64 s[2:3], exec, s[0:1]
	s_cbranch_execz .LBB18_23
; %bb.22:
	s_ashr_i32 s6, s41, 31
	s_add_u32 s0, s40, s6
	s_mov_b32 s7, s6
	s_addc_u32 s1, s41, s6
	s_xor_b64 s[12:13], s[0:1], s[6:7]
	v_cvt_f32_u32_e32 v10, s12
	v_cvt_f32_u32_e32 v11, s13
	s_sub_u32 s7, 0, s12
	s_subb_u32 s16, 0, s13
	v_ashrrev_i32_e32 v18, 31, v15
	v_madmk_f32 v10, v11, 0x4f800000, v10
	v_rcp_f32_e32 v10, v10
	v_mul_f32_e32 v10, 0x5f7ffffc, v10
	v_mul_f32_e32 v11, 0x2f800000, v10
	v_trunc_f32_e32 v11, v11
	v_madmk_f32 v10, v11, 0xcf800000, v10
	v_cvt_u32_f32_e32 v11, v11
	v_cvt_u32_f32_e32 v10, v10
	v_readfirstlane_b32 s17, v11
	v_readfirstlane_b32 s0, v10
	s_mul_i32 s1, s7, s17
	s_mul_hi_u32 s19, s7, s0
	s_mul_i32 s18, s16, s0
	s_add_i32 s1, s19, s1
	s_add_i32 s1, s1, s18
	s_mul_i32 s24, s7, s0
	s_mul_i32 s19, s0, s1
	s_mul_hi_u32 s25, s0, s24
	s_mul_hi_u32 s18, s0, s1
	s_add_u32 s19, s25, s19
	s_addc_u32 s18, 0, s18
	s_mul_hi_u32 s26, s17, s24
	s_mul_i32 s24, s17, s24
	s_add_u32 s19, s19, s24
	s_mul_hi_u32 s25, s17, s1
	s_addc_u32 s18, s18, s26
	s_addc_u32 s19, s25, 0
	s_mul_i32 s1, s17, s1
	s_add_u32 s1, s18, s1
	s_addc_u32 s18, 0, s19
	s_add_u32 s19, s0, s1
	s_cselect_b64 s[0:1], -1, 0
	s_cmp_lg_u64 s[0:1], 0
	s_addc_u32 s17, s17, s18
	s_mul_i32 s0, s7, s17
	s_mul_hi_u32 s1, s7, s19
	s_add_i32 s0, s1, s0
	s_mul_i32 s16, s16, s19
	s_add_i32 s0, s0, s16
	s_mul_i32 s7, s7, s19
	s_mul_hi_u32 s16, s17, s7
	s_mul_i32 s18, s17, s7
	s_mul_i32 s25, s19, s0
	s_mul_hi_u32 s7, s19, s7
	s_mul_hi_u32 s24, s19, s0
	s_add_u32 s7, s7, s25
	s_addc_u32 s24, 0, s24
	s_add_u32 s7, s7, s18
	s_mul_hi_u32 s1, s17, s0
	s_addc_u32 s7, s24, s16
	s_addc_u32 s1, s1, 0
	s_mul_i32 s0, s17, s0
	s_add_u32 s0, s7, s0
	s_addc_u32 s7, 0, s1
	s_add_u32 s16, s19, s0
	s_cselect_b64 s[0:1], -1, 0
	s_cmp_lg_u64 s[0:1], 0
	v_add_co_u32_e32 v10, vcc, v14, v18
	s_addc_u32 s7, s17, s7
	v_xor_b32_e32 v19, v10, v18
	v_mad_u64_u32 v[10:11], s[0:1], v19, s7, 0
	v_mul_hi_u32 v17, v19, s16
	v_addc_co_u32_e32 v16, vcc, v15, v18, vcc
	v_xor_b32_e32 v20, v16, v18
	v_add_co_u32_e32 v21, vcc, v17, v10
	v_addc_co_u32_e32 v22, vcc, 0, v11, vcc
	v_mad_u64_u32 v[10:11], s[0:1], v20, s16, 0
	v_mad_u64_u32 v[16:17], s[0:1], v20, s7, 0
	v_add_co_u32_e32 v10, vcc, v21, v10
	v_addc_co_u32_e32 v10, vcc, v22, v11, vcc
	v_addc_co_u32_e32 v11, vcc, 0, v17, vcc
	v_add_co_u32_e32 v16, vcc, v10, v16
	v_addc_co_u32_e32 v17, vcc, 0, v11, vcc
	v_mul_lo_u32 v21, s13, v16
	v_mul_lo_u32 v22, s12, v17
	v_mad_u64_u32 v[10:11], s[0:1], s12, v16, 0
	v_add3_u32 v11, v11, v22, v21
	v_sub_u32_e32 v21, v20, v11
	v_mov_b32_e32 v22, s13
	v_sub_co_u32_e32 v10, vcc, v19, v10
	v_subb_co_u32_e64 v19, s[0:1], v21, v22, vcc
	v_subrev_co_u32_e64 v21, s[0:1], s12, v10
	v_subbrev_co_u32_e64 v19, s[0:1], 0, v19, s[0:1]
	v_cmp_le_u32_e64 s[0:1], s13, v19
	v_cndmask_b32_e64 v22, 0, -1, s[0:1]
	v_cmp_le_u32_e64 s[0:1], s12, v21
	v_cndmask_b32_e64 v21, 0, -1, s[0:1]
	v_cmp_eq_u32_e64 s[0:1], s13, v19
	v_cndmask_b32_e64 v19, v22, v21, s[0:1]
	v_add_co_u32_e64 v21, s[0:1], 2, v16
	v_subb_co_u32_e32 v11, vcc, v20, v11, vcc
	v_addc_co_u32_e64 v22, s[0:1], 0, v17, s[0:1]
	v_cmp_le_u32_e32 vcc, s13, v11
	v_add_co_u32_e64 v23, s[0:1], 1, v16
	v_cndmask_b32_e64 v20, 0, -1, vcc
	v_cmp_le_u32_e32 vcc, s12, v10
	v_addc_co_u32_e64 v24, s[0:1], 0, v17, s[0:1]
	v_cndmask_b32_e64 v10, 0, -1, vcc
	v_cmp_eq_u32_e32 vcc, s13, v11
	v_cmp_ne_u32_e64 s[0:1], 0, v19
	v_cndmask_b32_e32 v10, v20, v10, vcc
	v_cndmask_b32_e64 v19, v24, v22, s[0:1]
	v_cmp_ne_u32_e32 vcc, 0, v10
	v_cndmask_b32_e64 v11, v23, v21, s[0:1]
	v_cndmask_b32_e32 v10, v17, v19, vcc
	v_cndmask_b32_e32 v11, v16, v11, vcc
	v_xor_b32_e32 v16, s6, v18
	v_xor_b32_e32 v17, v10, v16
	;; [unrolled: 1-line block ×3, first 2 shown]
	v_sub_co_u32_e32 v10, vcc, v10, v16
	v_subb_co_u32_e32 v11, vcc, v17, v16, vcc
.LBB18_23:
	s_andn2_saveexec_b64 s[0:1], s[2:3]
	s_cbranch_execz .LBB18_25
; %bb.24:
	v_cvt_f32_u32_e32 v10, s40
	s_sub_i32 s2, 0, s40
	v_rcp_iflag_f32_e32 v10, v10
	v_mul_f32_e32 v10, 0x4f7ffffe, v10
	v_cvt_u32_f32_e32 v10, v10
	v_mul_lo_u32 v11, s2, v10
	v_mul_hi_u32 v11, v10, v11
	v_add_u32_e32 v10, v10, v11
	v_mul_hi_u32 v10, v14, v10
	v_mul_lo_u32 v11, v10, s40
	v_add_u32_e32 v16, 1, v10
	v_sub_u32_e32 v11, v14, v11
	v_subrev_u32_e32 v17, s40, v11
	v_cmp_le_u32_e32 vcc, s40, v11
	v_cndmask_b32_e32 v11, v11, v17, vcc
	v_cndmask_b32_e32 v10, v10, v16, vcc
	v_add_u32_e32 v16, 1, v10
	v_cmp_le_u32_e32 vcc, s40, v11
	v_cndmask_b32_e32 v10, v10, v16, vcc
	v_mov_b32_e32 v11, 0
.LBB18_25:
	s_or_b64 exec, exec, s[0:1]
	v_mul_lo_u32 v18, v7, s14
	v_mul_lo_u32 v19, v6, s15
	v_mad_u64_u32 v[16:17], s[0:1], v6, s14, 0
	v_mul_lo_u32 v7, v7, s22
	v_mul_lo_u32 v3, v3, s36
	v_add3_u32 v17, v17, v19, v18
	v_sub_co_u32_e32 v16, vcc, v12, v16
	v_subb_co_u32_e32 v17, vcc, v13, v17, vcc
	v_mov_b32_e32 v12, s8
	v_mov_b32_e32 v13, s9
	v_mul_lo_u32 v18, v16, s21
	v_mul_lo_u32 v17, v17, s20
	v_mad_u64_u32 v[12:13], s[0:1], v16, s20, v[12:13]
	v_mul_lo_u32 v1, v1, s38
	v_add3_u32 v13, v17, v13, v18
	v_mad_u64_u32 v[12:13], s[0:1], v6, s22, v[12:13]
	v_mul_lo_u32 v6, v6, s23
	v_add3_u32 v13, v7, v13, v6
	v_mad_u64_u32 v[6:7], s[0:1], v2, s36, v[12:13]
	v_mul_lo_u32 v2, v2, s37
	v_mul_lo_u32 v12, v10, s41
	v_add3_u32 v7, v3, v7, v2
	v_mad_u64_u32 v[2:3], s[0:1], v0, s38, v[6:7]
	v_mul_lo_u32 v0, v0, s39
	v_mul_lo_u32 v7, v11, s40
	v_add3_u32 v3, v1, v3, v0
	global_load_dword v6, v[2:3], off
	v_mad_u64_u32 v[0:1], s[0:1], v10, s40, 0
	v_mov_b32_e32 v2, s10
	v_mov_b32_e32 v3, s11
	v_add3_u32 v1, v1, v12, v7
	v_sub_co_u32_e32 v0, vcc, v14, v0
	v_subb_co_u32_e32 v1, vcc, v15, v1, vcc
	v_mul_lo_u32 v7, v0, s47
	v_mul_lo_u32 v12, v1, s46
	v_mad_u64_u32 v[0:1], s[0:1], v0, s46, v[2:3]
	v_mul_lo_u32 v2, v10, s49
	v_mul_lo_u32 v3, v11, s48
	v_add3_u32 v1, v12, v1, v7
	v_mad_u64_u32 v[0:1], s[0:1], v10, s48, v[0:1]
	v_add3_u32 v1, v3, v1, v2
	v_mad_u64_u32 v[0:1], s[0:1], v4, s50, v[0:1]
	v_mul_lo_u32 v2, v4, s51
	v_mul_lo_u32 v3, v5, s50
	s_load_dwordx2 s[0:1], s[4:5], 0x80
	v_add3_u32 v1, v3, v1, v2
	s_waitcnt lgkmcnt(0)
	v_mad_u64_u32 v[0:1], s[2:3], v8, s0, v[0:1]
	v_mul_lo_u32 v2, v8, s1
	v_mul_lo_u32 v3, v9, s0
	v_add3_u32 v1, v3, v1, v2
	s_waitcnt vmcnt(0)
	v_cvt_f16_f32_e32 v4, v6
	global_store_short v[0:1], v4, off
.LBB18_26:
	s_endpgm
	.section	.rodata,"a",@progbits
	.p2align	6, 0x0
	.amdhsa_kernel _ZL10cpy_scalarIXadL_ZL12cpy_1_scalarIf6__halfEvPKcPcEEEvS3_S4_lllllllllllllll
		.amdhsa_group_segment_fixed_size 0
		.amdhsa_private_segment_fixed_size 0
		.amdhsa_kernarg_size 392
		.amdhsa_user_sgpr_count 6
		.amdhsa_user_sgpr_private_segment_buffer 1
		.amdhsa_user_sgpr_dispatch_ptr 0
		.amdhsa_user_sgpr_queue_ptr 0
		.amdhsa_user_sgpr_kernarg_segment_ptr 1
		.amdhsa_user_sgpr_dispatch_id 0
		.amdhsa_user_sgpr_flat_scratch_init 0
		.amdhsa_user_sgpr_private_segment_size 0
		.amdhsa_uses_dynamic_stack 0
		.amdhsa_system_sgpr_private_segment_wavefront_offset 0
		.amdhsa_system_sgpr_workgroup_id_x 1
		.amdhsa_system_sgpr_workgroup_id_y 0
		.amdhsa_system_sgpr_workgroup_id_z 0
		.amdhsa_system_sgpr_workgroup_info 0
		.amdhsa_system_vgpr_workitem_id 0
		.amdhsa_next_free_vgpr 25
		.amdhsa_next_free_sgpr 52
		.amdhsa_reserve_vcc 1
		.amdhsa_reserve_flat_scratch 0
		.amdhsa_float_round_mode_32 0
		.amdhsa_float_round_mode_16_64 0
		.amdhsa_float_denorm_mode_32 3
		.amdhsa_float_denorm_mode_16_64 3
		.amdhsa_dx10_clamp 1
		.amdhsa_ieee_mode 1
		.amdhsa_fp16_overflow 0
		.amdhsa_exception_fp_ieee_invalid_op 0
		.amdhsa_exception_fp_denorm_src 0
		.amdhsa_exception_fp_ieee_div_zero 0
		.amdhsa_exception_fp_ieee_overflow 0
		.amdhsa_exception_fp_ieee_underflow 0
		.amdhsa_exception_fp_ieee_inexact 0
		.amdhsa_exception_int_div_zero 0
	.end_amdhsa_kernel
	.section	.text._ZL10cpy_scalarIXadL_ZL12cpy_1_scalarIf6__halfEvPKcPcEEEvS3_S4_lllllllllllllll,"axG",@progbits,_ZL10cpy_scalarIXadL_ZL12cpy_1_scalarIf6__halfEvPKcPcEEEvS3_S4_lllllllllllllll,comdat
.Lfunc_end18:
	.size	_ZL10cpy_scalarIXadL_ZL12cpy_1_scalarIf6__halfEvPKcPcEEEvS3_S4_lllllllllllllll, .Lfunc_end18-_ZL10cpy_scalarIXadL_ZL12cpy_1_scalarIf6__halfEvPKcPcEEEvS3_S4_lllllllllllllll
                                        ; -- End function
	.set _ZL10cpy_scalarIXadL_ZL12cpy_1_scalarIf6__halfEvPKcPcEEEvS3_S4_lllllllllllllll.num_vgpr, 25
	.set _ZL10cpy_scalarIXadL_ZL12cpy_1_scalarIf6__halfEvPKcPcEEEvS3_S4_lllllllllllllll.num_agpr, 0
	.set _ZL10cpy_scalarIXadL_ZL12cpy_1_scalarIf6__halfEvPKcPcEEEvS3_S4_lllllllllllllll.numbered_sgpr, 52
	.set _ZL10cpy_scalarIXadL_ZL12cpy_1_scalarIf6__halfEvPKcPcEEEvS3_S4_lllllllllllllll.num_named_barrier, 0
	.set _ZL10cpy_scalarIXadL_ZL12cpy_1_scalarIf6__halfEvPKcPcEEEvS3_S4_lllllllllllllll.private_seg_size, 0
	.set _ZL10cpy_scalarIXadL_ZL12cpy_1_scalarIf6__halfEvPKcPcEEEvS3_S4_lllllllllllllll.uses_vcc, 1
	.set _ZL10cpy_scalarIXadL_ZL12cpy_1_scalarIf6__halfEvPKcPcEEEvS3_S4_lllllllllllllll.uses_flat_scratch, 0
	.set _ZL10cpy_scalarIXadL_ZL12cpy_1_scalarIf6__halfEvPKcPcEEEvS3_S4_lllllllllllllll.has_dyn_sized_stack, 0
	.set _ZL10cpy_scalarIXadL_ZL12cpy_1_scalarIf6__halfEvPKcPcEEEvS3_S4_lllllllllllllll.has_recursion, 0
	.set _ZL10cpy_scalarIXadL_ZL12cpy_1_scalarIf6__halfEvPKcPcEEEvS3_S4_lllllllllllllll.has_indirect_call, 0
	.section	.AMDGPU.csdata,"",@progbits
; Kernel info:
; codeLenInByte = 5200
; TotalNumSgprs: 56
; NumVgprs: 25
; ScratchSize: 0
; MemoryBound: 0
; FloatMode: 240
; IeeeMode: 1
; LDSByteSize: 0 bytes/workgroup (compile time only)
; SGPRBlocks: 6
; VGPRBlocks: 6
; NumSGPRsForWavesPerEU: 56
; NumVGPRsForWavesPerEU: 25
; Occupancy: 9
; WaveLimiterHint : 0
; COMPUTE_PGM_RSRC2:SCRATCH_EN: 0
; COMPUTE_PGM_RSRC2:USER_SGPR: 6
; COMPUTE_PGM_RSRC2:TRAP_HANDLER: 0
; COMPUTE_PGM_RSRC2:TGID_X_EN: 1
; COMPUTE_PGM_RSRC2:TGID_Y_EN: 0
; COMPUTE_PGM_RSRC2:TGID_Z_EN: 0
; COMPUTE_PGM_RSRC2:TIDIG_COMP_CNT: 0
	.section	.text._ZL10cpy_scalarIXadL_ZL12cpy_1_scalarI6__halfS1_EvPKcPcEEEvS3_S4_lllllllllllllll,"axG",@progbits,_ZL10cpy_scalarIXadL_ZL12cpy_1_scalarI6__halfS1_EvPKcPcEEEvS3_S4_lllllllllllllll,comdat
	.globl	_ZL10cpy_scalarIXadL_ZL12cpy_1_scalarI6__halfS1_EvPKcPcEEEvS3_S4_lllllllllllllll ; -- Begin function _ZL10cpy_scalarIXadL_ZL12cpy_1_scalarI6__halfS1_EvPKcPcEEEvS3_S4_lllllllllllllll
	.p2align	8
	.type	_ZL10cpy_scalarIXadL_ZL12cpy_1_scalarI6__halfS1_EvPKcPcEEEvS3_S4_lllllllllllllll,@function
_ZL10cpy_scalarIXadL_ZL12cpy_1_scalarI6__halfS1_EvPKcPcEEEvS3_S4_lllllllllllllll: ; @_ZL10cpy_scalarIXadL_ZL12cpy_1_scalarI6__halfS1_EvPKcPcEEEvS3_S4_lllllllllllllll
; %bb.0:
	s_load_dword s0, s[4:5], 0x94
	v_mov_b32_e32 v2, 0
	s_load_dwordx16 s[8:23], s[4:5], 0x0
	v_mov_b32_e32 v1, v2
	v_mov_b32_e32 v3, s6
	s_waitcnt lgkmcnt(0)
	s_and_b32 s0, s0, 0xffff
	v_mad_u64_u32 v[4:5], s[0:1], s0, v3, v[0:1]
	v_cmp_gt_i64_e32 vcc, s[12:13], v[4:5]
	s_and_saveexec_b64 s[0:1], vcc
	s_cbranch_execz .LBB19_26
; %bb.1:
	s_mul_i32 s0, s16, s15
	s_mul_hi_u32 s1, s16, s14
	s_add_i32 s0, s1, s0
	s_mul_i32 s1, s17, s14
	s_mul_i32 s16, s16, s14
	s_add_i32 s17, s0, s1
	s_mul_i32 s0, s16, s19
	s_mul_hi_u32 s1, s16, s18
	s_add_i32 s0, s1, s0
	s_mul_i32 s1, s17, s18
	s_add_i32 s19, s0, s1
	v_or_b32_e32 v3, s19, v5
	v_cmp_ne_u64_e32 vcc, 0, v[2:3]
	s_mul_i32 s18, s16, s18
	v_ashrrev_i32_e32 v10, 31, v5
                                        ; implicit-def: $vgpr0_vgpr1
	s_and_saveexec_b64 s[0:1], vcc
	s_xor_b64 s[2:3], exec, s[0:1]
	s_cbranch_execz .LBB19_3
; %bb.2:
	s_ashr_i32 s6, s19, 31
	s_add_u32 s0, s18, s6
	s_mov_b32 s7, s6
	s_addc_u32 s1, s19, s6
	s_xor_b64 s[12:13], s[0:1], s[6:7]
	v_cvt_f32_u32_e32 v0, s12
	v_cvt_f32_u32_e32 v1, s13
	s_sub_u32 s7, 0, s12
	s_subb_u32 s24, 0, s13
	v_madmk_f32 v0, v1, 0x4f800000, v0
	v_rcp_f32_e32 v0, v0
	v_mul_f32_e32 v0, 0x5f7ffffc, v0
	v_mul_f32_e32 v1, 0x2f800000, v0
	v_trunc_f32_e32 v1, v1
	v_madmk_f32 v0, v1, 0xcf800000, v0
	v_cvt_u32_f32_e32 v1, v1
	v_cvt_u32_f32_e32 v0, v0
	v_readfirstlane_b32 s25, v1
	v_readfirstlane_b32 s0, v0
	s_mul_i32 s1, s7, s25
	s_mul_hi_u32 s27, s7, s0
	s_mul_i32 s26, s24, s0
	s_add_i32 s1, s27, s1
	s_add_i32 s1, s1, s26
	s_mul_i32 s28, s7, s0
	s_mul_i32 s27, s0, s1
	s_mul_hi_u32 s29, s0, s28
	s_mul_hi_u32 s26, s0, s1
	s_add_u32 s27, s29, s27
	s_addc_u32 s26, 0, s26
	s_mul_hi_u32 s30, s25, s28
	s_mul_i32 s28, s25, s28
	s_add_u32 s27, s27, s28
	s_mul_hi_u32 s29, s25, s1
	s_addc_u32 s26, s26, s30
	s_addc_u32 s27, s29, 0
	s_mul_i32 s1, s25, s1
	s_add_u32 s1, s26, s1
	s_addc_u32 s26, 0, s27
	s_add_u32 s27, s0, s1
	s_cselect_b64 s[0:1], -1, 0
	s_cmp_lg_u64 s[0:1], 0
	s_addc_u32 s25, s25, s26
	s_mul_i32 s0, s7, s25
	s_mul_hi_u32 s1, s7, s27
	s_add_i32 s0, s1, s0
	s_mul_i32 s24, s24, s27
	s_add_i32 s0, s0, s24
	s_mul_i32 s7, s7, s27
	s_mul_hi_u32 s24, s25, s7
	s_mul_i32 s26, s25, s7
	s_mul_i32 s29, s27, s0
	s_mul_hi_u32 s7, s27, s7
	s_mul_hi_u32 s28, s27, s0
	s_add_u32 s7, s7, s29
	s_addc_u32 s28, 0, s28
	s_add_u32 s7, s7, s26
	s_mul_hi_u32 s1, s25, s0
	s_addc_u32 s7, s28, s24
	s_addc_u32 s1, s1, 0
	s_mul_i32 s0, s25, s0
	s_add_u32 s0, s7, s0
	s_addc_u32 s7, 0, s1
	s_add_u32 s24, s27, s0
	s_cselect_b64 s[0:1], -1, 0
	s_cmp_lg_u64 s[0:1], 0
	v_add_co_u32_e32 v0, vcc, v4, v10
	s_addc_u32 s7, s25, s7
	v_xor_b32_e32 v6, v0, v10
	v_mad_u64_u32 v[0:1], s[0:1], v6, s7, 0
	v_mul_hi_u32 v3, v6, s24
	v_addc_co_u32_e32 v2, vcc, v5, v10, vcc
	v_xor_b32_e32 v7, v2, v10
	v_add_co_u32_e32 v8, vcc, v3, v0
	v_addc_co_u32_e32 v9, vcc, 0, v1, vcc
	v_mad_u64_u32 v[0:1], s[0:1], v7, s24, 0
	v_mad_u64_u32 v[2:3], s[0:1], v7, s7, 0
	v_add_co_u32_e32 v0, vcc, v8, v0
	v_addc_co_u32_e32 v0, vcc, v9, v1, vcc
	v_addc_co_u32_e32 v1, vcc, 0, v3, vcc
	v_add_co_u32_e32 v2, vcc, v0, v2
	v_addc_co_u32_e32 v3, vcc, 0, v1, vcc
	v_mul_lo_u32 v8, s13, v2
	v_mul_lo_u32 v9, s12, v3
	v_mad_u64_u32 v[0:1], s[0:1], s12, v2, 0
	v_add3_u32 v1, v1, v9, v8
	v_sub_u32_e32 v8, v7, v1
	v_mov_b32_e32 v9, s13
	v_sub_co_u32_e32 v0, vcc, v6, v0
	v_subb_co_u32_e64 v6, s[0:1], v8, v9, vcc
	v_subrev_co_u32_e64 v8, s[0:1], s12, v0
	v_subbrev_co_u32_e64 v6, s[0:1], 0, v6, s[0:1]
	v_cmp_le_u32_e64 s[0:1], s13, v6
	v_cndmask_b32_e64 v9, 0, -1, s[0:1]
	v_cmp_le_u32_e64 s[0:1], s12, v8
	v_cndmask_b32_e64 v8, 0, -1, s[0:1]
	v_cmp_eq_u32_e64 s[0:1], s13, v6
	v_cndmask_b32_e64 v6, v9, v8, s[0:1]
	v_add_co_u32_e64 v8, s[0:1], 2, v2
	v_subb_co_u32_e32 v1, vcc, v7, v1, vcc
	v_addc_co_u32_e64 v9, s[0:1], 0, v3, s[0:1]
	v_cmp_le_u32_e32 vcc, s13, v1
	v_add_co_u32_e64 v11, s[0:1], 1, v2
	v_cndmask_b32_e64 v7, 0, -1, vcc
	v_cmp_le_u32_e32 vcc, s12, v0
	v_addc_co_u32_e64 v12, s[0:1], 0, v3, s[0:1]
	v_cndmask_b32_e64 v0, 0, -1, vcc
	v_cmp_eq_u32_e32 vcc, s13, v1
	v_cmp_ne_u32_e64 s[0:1], 0, v6
	v_cndmask_b32_e32 v0, v7, v0, vcc
	v_cndmask_b32_e64 v6, v12, v9, s[0:1]
	v_cmp_ne_u32_e32 vcc, 0, v0
	v_cndmask_b32_e64 v1, v11, v8, s[0:1]
	v_cndmask_b32_e32 v0, v3, v6, vcc
	v_cndmask_b32_e32 v1, v2, v1, vcc
	v_xor_b32_e32 v2, s6, v10
	v_xor_b32_e32 v3, v0, v2
	;; [unrolled: 1-line block ×3, first 2 shown]
	v_sub_co_u32_e32 v0, vcc, v0, v2
	v_subb_co_u32_e32 v1, vcc, v3, v2, vcc
.LBB19_3:
	s_andn2_saveexec_b64 s[0:1], s[2:3]
	s_cbranch_execz .LBB19_5
; %bb.4:
	v_cvt_f32_u32_e32 v0, s18
	s_sub_i32 s2, 0, s18
	v_rcp_iflag_f32_e32 v0, v0
	v_mul_f32_e32 v0, 0x4f7ffffe, v0
	v_cvt_u32_f32_e32 v0, v0
	v_mul_lo_u32 v1, s2, v0
	v_mul_hi_u32 v1, v0, v1
	v_add_u32_e32 v0, v0, v1
	v_mul_hi_u32 v0, v4, v0
	v_mul_lo_u32 v1, v0, s18
	v_add_u32_e32 v2, 1, v0
	v_sub_u32_e32 v1, v4, v1
	v_subrev_u32_e32 v3, s18, v1
	v_cmp_le_u32_e32 vcc, s18, v1
	v_cndmask_b32_e32 v1, v1, v3, vcc
	v_cndmask_b32_e32 v0, v0, v2, vcc
	v_add_u32_e32 v2, 1, v0
	v_cmp_le_u32_e32 vcc, s18, v1
	v_cndmask_b32_e32 v0, v0, v2, vcc
	v_mov_b32_e32 v1, 0
.LBB19_5:
	s_or_b64 exec, exec, s[0:1]
	v_mul_lo_u32 v6, s19, v0
	v_mul_lo_u32 v7, s18, v1
	v_mad_u64_u32 v[2:3], s[0:1], s18, v0, 0
	v_add3_u32 v3, v3, v7, v6
	v_sub_co_u32_e32 v6, vcc, v4, v2
	v_subb_co_u32_e32 v7, vcc, v5, v3, vcc
	v_or_b32_e32 v3, s17, v7
	v_mov_b32_e32 v2, 0
	v_cmp_ne_u64_e32 vcc, 0, v[2:3]
                                        ; implicit-def: $vgpr2_vgpr3
	s_and_saveexec_b64 s[0:1], vcc
	s_xor_b64 s[2:3], exec, s[0:1]
	s_cbranch_execz .LBB19_7
; %bb.6:
	s_ashr_i32 s6, s17, 31
	s_add_u32 s0, s16, s6
	s_mov_b32 s7, s6
	s_addc_u32 s1, s17, s6
	s_xor_b64 s[12:13], s[0:1], s[6:7]
	v_cvt_f32_u32_e32 v2, s12
	v_cvt_f32_u32_e32 v3, s13
	s_sub_u32 s7, 0, s12
	s_subb_u32 s18, 0, s13
	v_ashrrev_i32_e32 v11, 31, v7
	v_madmk_f32 v2, v3, 0x4f800000, v2
	v_rcp_f32_e32 v2, v2
	v_mul_f32_e32 v2, 0x5f7ffffc, v2
	v_mul_f32_e32 v3, 0x2f800000, v2
	v_trunc_f32_e32 v3, v3
	v_madmk_f32 v2, v3, 0xcf800000, v2
	v_cvt_u32_f32_e32 v3, v3
	v_cvt_u32_f32_e32 v2, v2
	v_readfirstlane_b32 s19, v3
	v_readfirstlane_b32 s0, v2
	s_mul_i32 s1, s7, s19
	s_mul_hi_u32 s25, s7, s0
	s_mul_i32 s24, s18, s0
	s_add_i32 s1, s25, s1
	s_add_i32 s1, s1, s24
	s_mul_i32 s26, s7, s0
	s_mul_i32 s25, s0, s1
	s_mul_hi_u32 s27, s0, s26
	s_mul_hi_u32 s24, s0, s1
	s_add_u32 s25, s27, s25
	s_addc_u32 s24, 0, s24
	s_mul_hi_u32 s28, s19, s26
	s_mul_i32 s26, s19, s26
	s_add_u32 s25, s25, s26
	s_mul_hi_u32 s27, s19, s1
	s_addc_u32 s24, s24, s28
	s_addc_u32 s25, s27, 0
	s_mul_i32 s1, s19, s1
	s_add_u32 s1, s24, s1
	s_addc_u32 s24, 0, s25
	s_add_u32 s25, s0, s1
	s_cselect_b64 s[0:1], -1, 0
	s_cmp_lg_u64 s[0:1], 0
	s_addc_u32 s19, s19, s24
	s_mul_i32 s0, s7, s19
	s_mul_hi_u32 s1, s7, s25
	s_add_i32 s0, s1, s0
	s_mul_i32 s18, s18, s25
	s_add_i32 s0, s0, s18
	s_mul_i32 s7, s7, s25
	s_mul_hi_u32 s18, s19, s7
	s_mul_i32 s24, s19, s7
	s_mul_i32 s27, s25, s0
	s_mul_hi_u32 s7, s25, s7
	s_mul_hi_u32 s26, s25, s0
	s_add_u32 s7, s7, s27
	s_addc_u32 s26, 0, s26
	s_add_u32 s7, s7, s24
	s_mul_hi_u32 s1, s19, s0
	s_addc_u32 s7, s26, s18
	s_addc_u32 s1, s1, 0
	s_mul_i32 s0, s19, s0
	s_add_u32 s0, s7, s0
	s_addc_u32 s7, 0, s1
	s_add_u32 s18, s25, s0
	s_cselect_b64 s[0:1], -1, 0
	s_cmp_lg_u64 s[0:1], 0
	v_add_co_u32_e32 v2, vcc, v6, v11
	s_addc_u32 s7, s19, s7
	v_xor_b32_e32 v12, v2, v11
	v_mad_u64_u32 v[2:3], s[0:1], v12, s7, 0
	v_mul_hi_u32 v9, v12, s18
	v_addc_co_u32_e32 v8, vcc, v7, v11, vcc
	v_xor_b32_e32 v13, v8, v11
	v_add_co_u32_e32 v14, vcc, v9, v2
	v_addc_co_u32_e32 v15, vcc, 0, v3, vcc
	v_mad_u64_u32 v[2:3], s[0:1], v13, s18, 0
	v_mad_u64_u32 v[8:9], s[0:1], v13, s7, 0
	v_add_co_u32_e32 v2, vcc, v14, v2
	v_addc_co_u32_e32 v2, vcc, v15, v3, vcc
	v_addc_co_u32_e32 v3, vcc, 0, v9, vcc
	v_add_co_u32_e32 v8, vcc, v2, v8
	v_addc_co_u32_e32 v9, vcc, 0, v3, vcc
	v_mul_lo_u32 v14, s13, v8
	v_mul_lo_u32 v15, s12, v9
	v_mad_u64_u32 v[2:3], s[0:1], s12, v8, 0
	v_add3_u32 v3, v3, v15, v14
	v_sub_u32_e32 v14, v13, v3
	v_mov_b32_e32 v15, s13
	v_sub_co_u32_e32 v2, vcc, v12, v2
	v_subb_co_u32_e64 v12, s[0:1], v14, v15, vcc
	v_subrev_co_u32_e64 v14, s[0:1], s12, v2
	v_subbrev_co_u32_e64 v12, s[0:1], 0, v12, s[0:1]
	v_cmp_le_u32_e64 s[0:1], s13, v12
	v_cndmask_b32_e64 v15, 0, -1, s[0:1]
	v_cmp_le_u32_e64 s[0:1], s12, v14
	v_cndmask_b32_e64 v14, 0, -1, s[0:1]
	v_cmp_eq_u32_e64 s[0:1], s13, v12
	v_cndmask_b32_e64 v12, v15, v14, s[0:1]
	v_add_co_u32_e64 v14, s[0:1], 2, v8
	v_subb_co_u32_e32 v3, vcc, v13, v3, vcc
	v_addc_co_u32_e64 v15, s[0:1], 0, v9, s[0:1]
	v_cmp_le_u32_e32 vcc, s13, v3
	v_add_co_u32_e64 v16, s[0:1], 1, v8
	v_cndmask_b32_e64 v13, 0, -1, vcc
	v_cmp_le_u32_e32 vcc, s12, v2
	v_addc_co_u32_e64 v17, s[0:1], 0, v9, s[0:1]
	v_cndmask_b32_e64 v2, 0, -1, vcc
	v_cmp_eq_u32_e32 vcc, s13, v3
	v_cmp_ne_u32_e64 s[0:1], 0, v12
	v_cndmask_b32_e32 v2, v13, v2, vcc
	v_cndmask_b32_e64 v12, v17, v15, s[0:1]
	v_cmp_ne_u32_e32 vcc, 0, v2
	v_cndmask_b32_e64 v3, v16, v14, s[0:1]
	v_cndmask_b32_e32 v2, v9, v12, vcc
	v_cndmask_b32_e32 v3, v8, v3, vcc
	v_xor_b32_e32 v8, s6, v11
	v_xor_b32_e32 v9, v2, v8
	;; [unrolled: 1-line block ×3, first 2 shown]
	v_sub_co_u32_e32 v2, vcc, v2, v8
	v_subb_co_u32_e32 v3, vcc, v9, v8, vcc
.LBB19_7:
	s_andn2_saveexec_b64 s[0:1], s[2:3]
	s_cbranch_execz .LBB19_9
; %bb.8:
	v_cvt_f32_u32_e32 v2, s16
	s_sub_i32 s2, 0, s16
	v_rcp_iflag_f32_e32 v2, v2
	v_mul_f32_e32 v2, 0x4f7ffffe, v2
	v_cvt_u32_f32_e32 v2, v2
	v_mul_lo_u32 v3, s2, v2
	v_mul_hi_u32 v3, v2, v3
	v_add_u32_e32 v2, v2, v3
	v_mul_hi_u32 v2, v6, v2
	v_mul_lo_u32 v3, v2, s16
	v_add_u32_e32 v8, 1, v2
	v_sub_u32_e32 v3, v6, v3
	v_subrev_u32_e32 v9, s16, v3
	v_cmp_le_u32_e32 vcc, s16, v3
	v_cndmask_b32_e32 v3, v3, v9, vcc
	v_cndmask_b32_e32 v2, v2, v8, vcc
	v_add_u32_e32 v8, 1, v2
	v_cmp_le_u32_e32 vcc, s16, v3
	v_cndmask_b32_e32 v2, v2, v8, vcc
	v_mov_b32_e32 v3, 0
.LBB19_9:
	s_or_b64 exec, exec, s[0:1]
	v_mul_lo_u32 v11, s17, v2
	v_mul_lo_u32 v12, s16, v3
	v_mad_u64_u32 v[8:9], s[0:1], s16, v2, 0
	v_add3_u32 v9, v9, v12, v11
	v_sub_co_u32_e32 v12, vcc, v6, v8
	v_subb_co_u32_e32 v13, vcc, v7, v9, vcc
	v_or_b32_e32 v7, s15, v13
	v_mov_b32_e32 v6, 0
	v_cmp_ne_u64_e32 vcc, 0, v[6:7]
                                        ; implicit-def: $vgpr6_vgpr7
	s_and_saveexec_b64 s[0:1], vcc
	s_xor_b64 s[2:3], exec, s[0:1]
	s_cbranch_execz .LBB19_11
; %bb.10:
	s_ashr_i32 s6, s15, 31
	s_add_u32 s0, s14, s6
	s_mov_b32 s7, s6
	s_addc_u32 s1, s15, s6
	s_xor_b64 s[12:13], s[0:1], s[6:7]
	v_cvt_f32_u32_e32 v6, s12
	v_cvt_f32_u32_e32 v7, s13
	s_sub_u32 s7, 0, s12
	s_subb_u32 s16, 0, s13
	v_ashrrev_i32_e32 v11, 31, v13
	v_madmk_f32 v6, v7, 0x4f800000, v6
	v_rcp_f32_e32 v6, v6
	v_mul_f32_e32 v6, 0x5f7ffffc, v6
	v_mul_f32_e32 v7, 0x2f800000, v6
	v_trunc_f32_e32 v7, v7
	v_madmk_f32 v6, v7, 0xcf800000, v6
	v_cvt_u32_f32_e32 v7, v7
	v_cvt_u32_f32_e32 v6, v6
	v_readfirstlane_b32 s17, v7
	v_readfirstlane_b32 s0, v6
	s_mul_i32 s1, s7, s17
	s_mul_hi_u32 s19, s7, s0
	s_mul_i32 s18, s16, s0
	s_add_i32 s1, s19, s1
	s_add_i32 s1, s1, s18
	s_mul_i32 s24, s7, s0
	s_mul_i32 s19, s0, s1
	s_mul_hi_u32 s25, s0, s24
	s_mul_hi_u32 s18, s0, s1
	s_add_u32 s19, s25, s19
	s_addc_u32 s18, 0, s18
	s_mul_hi_u32 s26, s17, s24
	s_mul_i32 s24, s17, s24
	s_add_u32 s19, s19, s24
	s_mul_hi_u32 s25, s17, s1
	s_addc_u32 s18, s18, s26
	s_addc_u32 s19, s25, 0
	s_mul_i32 s1, s17, s1
	s_add_u32 s1, s18, s1
	s_addc_u32 s18, 0, s19
	s_add_u32 s19, s0, s1
	s_cselect_b64 s[0:1], -1, 0
	s_cmp_lg_u64 s[0:1], 0
	s_addc_u32 s17, s17, s18
	s_mul_i32 s0, s7, s17
	s_mul_hi_u32 s1, s7, s19
	s_add_i32 s0, s1, s0
	s_mul_i32 s16, s16, s19
	s_add_i32 s0, s0, s16
	s_mul_i32 s7, s7, s19
	s_mul_hi_u32 s16, s17, s7
	s_mul_i32 s18, s17, s7
	s_mul_i32 s25, s19, s0
	s_mul_hi_u32 s7, s19, s7
	s_mul_hi_u32 s24, s19, s0
	s_add_u32 s7, s7, s25
	s_addc_u32 s24, 0, s24
	s_add_u32 s7, s7, s18
	s_mul_hi_u32 s1, s17, s0
	s_addc_u32 s7, s24, s16
	s_addc_u32 s1, s1, 0
	s_mul_i32 s0, s17, s0
	s_add_u32 s0, s7, s0
	s_addc_u32 s7, 0, s1
	s_add_u32 s16, s19, s0
	s_cselect_b64 s[0:1], -1, 0
	s_cmp_lg_u64 s[0:1], 0
	v_add_co_u32_e32 v6, vcc, v12, v11
	s_addc_u32 s7, s17, s7
	v_xor_b32_e32 v14, v6, v11
	v_mad_u64_u32 v[6:7], s[0:1], v14, s7, 0
	v_mul_hi_u32 v9, v14, s16
	v_addc_co_u32_e32 v8, vcc, v13, v11, vcc
	v_xor_b32_e32 v15, v8, v11
	v_add_co_u32_e32 v16, vcc, v9, v6
	v_addc_co_u32_e32 v17, vcc, 0, v7, vcc
	v_mad_u64_u32 v[6:7], s[0:1], v15, s16, 0
	v_mad_u64_u32 v[8:9], s[0:1], v15, s7, 0
	v_add_co_u32_e32 v6, vcc, v16, v6
	v_addc_co_u32_e32 v6, vcc, v17, v7, vcc
	v_addc_co_u32_e32 v7, vcc, 0, v9, vcc
	v_add_co_u32_e32 v8, vcc, v6, v8
	v_addc_co_u32_e32 v9, vcc, 0, v7, vcc
	v_mul_lo_u32 v16, s13, v8
	v_mul_lo_u32 v17, s12, v9
	v_mad_u64_u32 v[6:7], s[0:1], s12, v8, 0
	v_add3_u32 v7, v7, v17, v16
	v_sub_u32_e32 v16, v15, v7
	v_mov_b32_e32 v17, s13
	v_sub_co_u32_e32 v6, vcc, v14, v6
	v_subb_co_u32_e64 v14, s[0:1], v16, v17, vcc
	v_subrev_co_u32_e64 v16, s[0:1], s12, v6
	v_subbrev_co_u32_e64 v14, s[0:1], 0, v14, s[0:1]
	v_cmp_le_u32_e64 s[0:1], s13, v14
	v_cndmask_b32_e64 v17, 0, -1, s[0:1]
	v_cmp_le_u32_e64 s[0:1], s12, v16
	v_cndmask_b32_e64 v16, 0, -1, s[0:1]
	v_cmp_eq_u32_e64 s[0:1], s13, v14
	v_cndmask_b32_e64 v14, v17, v16, s[0:1]
	v_add_co_u32_e64 v16, s[0:1], 2, v8
	v_subb_co_u32_e32 v7, vcc, v15, v7, vcc
	v_addc_co_u32_e64 v17, s[0:1], 0, v9, s[0:1]
	v_cmp_le_u32_e32 vcc, s13, v7
	v_add_co_u32_e64 v18, s[0:1], 1, v8
	v_cndmask_b32_e64 v15, 0, -1, vcc
	v_cmp_le_u32_e32 vcc, s12, v6
	v_addc_co_u32_e64 v19, s[0:1], 0, v9, s[0:1]
	v_cndmask_b32_e64 v6, 0, -1, vcc
	v_cmp_eq_u32_e32 vcc, s13, v7
	v_cmp_ne_u32_e64 s[0:1], 0, v14
	v_cndmask_b32_e32 v6, v15, v6, vcc
	v_cndmask_b32_e64 v14, v19, v17, s[0:1]
	v_cmp_ne_u32_e32 vcc, 0, v6
	v_cndmask_b32_e64 v7, v18, v16, s[0:1]
	v_cndmask_b32_e32 v6, v9, v14, vcc
	v_cndmask_b32_e32 v7, v8, v7, vcc
	v_xor_b32_e32 v8, s6, v11
	v_xor_b32_e32 v9, v6, v8
	;; [unrolled: 1-line block ×3, first 2 shown]
	v_sub_co_u32_e32 v6, vcc, v6, v8
	v_subb_co_u32_e32 v7, vcc, v9, v8, vcc
.LBB19_11:
	s_andn2_saveexec_b64 s[0:1], s[2:3]
	s_cbranch_execz .LBB19_13
; %bb.12:
	v_cvt_f32_u32_e32 v6, s14
	s_sub_i32 s2, 0, s14
	v_rcp_iflag_f32_e32 v6, v6
	v_mul_f32_e32 v6, 0x4f7ffffe, v6
	v_cvt_u32_f32_e32 v6, v6
	v_mul_lo_u32 v7, s2, v6
	v_mul_hi_u32 v7, v6, v7
	v_add_u32_e32 v6, v6, v7
	v_mul_hi_u32 v6, v12, v6
	v_mul_lo_u32 v7, v6, s14
	v_add_u32_e32 v8, 1, v6
	v_sub_u32_e32 v7, v12, v7
	v_subrev_u32_e32 v9, s14, v7
	v_cmp_le_u32_e32 vcc, s14, v7
	v_cndmask_b32_e32 v7, v7, v9, vcc
	v_cndmask_b32_e32 v6, v6, v8, vcc
	v_add_u32_e32 v8, 1, v6
	v_cmp_le_u32_e32 vcc, s14, v7
	v_cndmask_b32_e32 v6, v6, v8, vcc
	v_mov_b32_e32 v7, 0
.LBB19_13:
	s_or_b64 exec, exec, s[0:1]
	s_load_dwordx16 s[36:51], s[4:5], 0x40
	v_mov_b32_e32 v8, 0
	s_waitcnt lgkmcnt(0)
	s_mul_i32 s0, s42, s41
	s_mul_hi_u32 s1, s42, s40
	s_mul_i32 s2, s43, s40
	s_mul_i32 s16, s42, s40
	s_add_i32 s17, s1, s0
	s_mul_i32 s0, s16, s45
	s_add_i32 s17, s17, s2
	s_mul_hi_u32 s1, s16, s44
	s_add_i32 s0, s1, s0
	s_mul_i32 s1, s17, s44
	s_add_i32 s18, s0, s1
	v_or_b32_e32 v9, s18, v5
	v_cmp_ne_u64_e32 vcc, 0, v[8:9]
	s_mul_i32 s19, s16, s44
                                        ; implicit-def: $vgpr8_vgpr9
	s_and_saveexec_b64 s[0:1], vcc
	s_xor_b64 s[2:3], exec, s[0:1]
	s_cbranch_execz .LBB19_15
; %bb.14:
	s_ashr_i32 s6, s18, 31
	s_add_u32 s0, s19, s6
	s_mov_b32 s7, s6
	s_addc_u32 s1, s18, s6
	s_xor_b64 s[12:13], s[0:1], s[6:7]
	v_cvt_f32_u32_e32 v8, s12
	v_cvt_f32_u32_e32 v9, s13
	s_sub_u32 s7, 0, s12
	s_subb_u32 s24, 0, s13
	v_madmk_f32 v8, v9, 0x4f800000, v8
	v_rcp_f32_e32 v8, v8
	v_mul_f32_e32 v8, 0x5f7ffffc, v8
	v_mul_f32_e32 v9, 0x2f800000, v8
	v_trunc_f32_e32 v9, v9
	v_madmk_f32 v8, v9, 0xcf800000, v8
	v_cvt_u32_f32_e32 v9, v9
	v_cvt_u32_f32_e32 v8, v8
	v_readfirstlane_b32 s25, v9
	v_readfirstlane_b32 s0, v8
	s_mul_i32 s1, s7, s25
	s_mul_hi_u32 s27, s7, s0
	s_mul_i32 s26, s24, s0
	s_add_i32 s1, s27, s1
	s_add_i32 s1, s1, s26
	s_mul_i32 s28, s7, s0
	s_mul_i32 s27, s0, s1
	s_mul_hi_u32 s29, s0, s28
	s_mul_hi_u32 s26, s0, s1
	s_add_u32 s27, s29, s27
	s_addc_u32 s26, 0, s26
	s_mul_hi_u32 s30, s25, s28
	s_mul_i32 s28, s25, s28
	s_add_u32 s27, s27, s28
	s_mul_hi_u32 s29, s25, s1
	s_addc_u32 s26, s26, s30
	s_addc_u32 s27, s29, 0
	s_mul_i32 s1, s25, s1
	s_add_u32 s1, s26, s1
	s_addc_u32 s26, 0, s27
	s_add_u32 s27, s0, s1
	s_cselect_b64 s[0:1], -1, 0
	s_cmp_lg_u64 s[0:1], 0
	s_addc_u32 s25, s25, s26
	s_mul_i32 s0, s7, s25
	s_mul_hi_u32 s1, s7, s27
	s_add_i32 s0, s1, s0
	s_mul_i32 s24, s24, s27
	s_add_i32 s0, s0, s24
	s_mul_i32 s7, s7, s27
	s_mul_hi_u32 s24, s25, s7
	s_mul_i32 s26, s25, s7
	s_mul_i32 s29, s27, s0
	s_mul_hi_u32 s7, s27, s7
	s_mul_hi_u32 s28, s27, s0
	s_add_u32 s7, s7, s29
	s_addc_u32 s28, 0, s28
	s_add_u32 s7, s7, s26
	s_mul_hi_u32 s1, s25, s0
	s_addc_u32 s7, s28, s24
	s_addc_u32 s1, s1, 0
	s_mul_i32 s0, s25, s0
	s_add_u32 s0, s7, s0
	s_addc_u32 s7, 0, s1
	s_add_u32 s24, s27, s0
	s_cselect_b64 s[0:1], -1, 0
	s_cmp_lg_u64 s[0:1], 0
	v_add_co_u32_e32 v8, vcc, v4, v10
	s_addc_u32 s7, s25, s7
	v_xor_b32_e32 v16, v8, v10
	v_mad_u64_u32 v[8:9], s[0:1], v16, s7, 0
	v_mul_hi_u32 v14, v16, s24
	v_addc_co_u32_e32 v11, vcc, v5, v10, vcc
	v_xor_b32_e32 v11, v11, v10
	v_add_co_u32_e32 v17, vcc, v14, v8
	v_addc_co_u32_e32 v18, vcc, 0, v9, vcc
	v_mad_u64_u32 v[8:9], s[0:1], v11, s24, 0
	v_mad_u64_u32 v[14:15], s[0:1], v11, s7, 0
	v_add_co_u32_e32 v8, vcc, v17, v8
	v_addc_co_u32_e32 v8, vcc, v18, v9, vcc
	v_addc_co_u32_e32 v9, vcc, 0, v15, vcc
	v_add_co_u32_e32 v14, vcc, v8, v14
	v_addc_co_u32_e32 v15, vcc, 0, v9, vcc
	v_mul_lo_u32 v17, s13, v14
	v_mul_lo_u32 v18, s12, v15
	v_mad_u64_u32 v[8:9], s[0:1], s12, v14, 0
	v_xor_b32_e32 v10, s6, v10
	v_add3_u32 v9, v9, v18, v17
	v_sub_u32_e32 v17, v11, v9
	v_mov_b32_e32 v18, s13
	v_sub_co_u32_e32 v8, vcc, v16, v8
	v_subb_co_u32_e64 v16, s[0:1], v17, v18, vcc
	v_subrev_co_u32_e64 v17, s[0:1], s12, v8
	v_subbrev_co_u32_e64 v16, s[0:1], 0, v16, s[0:1]
	v_cmp_le_u32_e64 s[0:1], s13, v16
	v_cndmask_b32_e64 v18, 0, -1, s[0:1]
	v_cmp_le_u32_e64 s[0:1], s12, v17
	v_cndmask_b32_e64 v17, 0, -1, s[0:1]
	v_cmp_eq_u32_e64 s[0:1], s13, v16
	v_cndmask_b32_e64 v16, v18, v17, s[0:1]
	v_add_co_u32_e64 v17, s[0:1], 2, v14
	v_subb_co_u32_e32 v9, vcc, v11, v9, vcc
	v_addc_co_u32_e64 v18, s[0:1], 0, v15, s[0:1]
	v_cmp_le_u32_e32 vcc, s13, v9
	v_add_co_u32_e64 v19, s[0:1], 1, v14
	v_cndmask_b32_e64 v11, 0, -1, vcc
	v_cmp_le_u32_e32 vcc, s12, v8
	v_addc_co_u32_e64 v20, s[0:1], 0, v15, s[0:1]
	v_cndmask_b32_e64 v8, 0, -1, vcc
	v_cmp_eq_u32_e32 vcc, s13, v9
	v_cmp_ne_u32_e64 s[0:1], 0, v16
	v_cndmask_b32_e32 v8, v11, v8, vcc
	v_cndmask_b32_e64 v16, v20, v18, s[0:1]
	v_cmp_ne_u32_e32 vcc, 0, v8
	v_cndmask_b32_e64 v9, v19, v17, s[0:1]
	v_cndmask_b32_e32 v8, v15, v16, vcc
	v_cndmask_b32_e32 v9, v14, v9, vcc
	v_xor_b32_e32 v11, v8, v10
	v_xor_b32_e32 v8, v9, v10
	v_sub_co_u32_e32 v8, vcc, v8, v10
	v_subb_co_u32_e32 v9, vcc, v11, v10, vcc
.LBB19_15:
	s_andn2_saveexec_b64 s[0:1], s[2:3]
	s_cbranch_execz .LBB19_17
; %bb.16:
	v_cvt_f32_u32_e32 v8, s19
	s_sub_i32 s2, 0, s19
	v_rcp_iflag_f32_e32 v8, v8
	v_mul_f32_e32 v8, 0x4f7ffffe, v8
	v_cvt_u32_f32_e32 v8, v8
	v_mul_lo_u32 v9, s2, v8
	v_mul_hi_u32 v9, v8, v9
	v_add_u32_e32 v8, v8, v9
	v_mul_hi_u32 v8, v4, v8
	v_mul_lo_u32 v9, v8, s19
	v_add_u32_e32 v10, 1, v8
	v_sub_u32_e32 v9, v4, v9
	v_subrev_u32_e32 v11, s19, v9
	v_cmp_le_u32_e32 vcc, s19, v9
	v_cndmask_b32_e32 v9, v9, v11, vcc
	v_cndmask_b32_e32 v8, v8, v10, vcc
	v_add_u32_e32 v10, 1, v8
	v_cmp_le_u32_e32 vcc, s19, v9
	v_cndmask_b32_e32 v8, v8, v10, vcc
	v_mov_b32_e32 v9, 0
.LBB19_17:
	s_or_b64 exec, exec, s[0:1]
	v_mul_lo_u32 v14, s18, v8
	v_mul_lo_u32 v15, s19, v9
	v_mad_u64_u32 v[10:11], s[0:1], s19, v8, 0
	v_add3_u32 v11, v11, v15, v14
	v_sub_co_u32_e32 v10, vcc, v4, v10
	v_subb_co_u32_e32 v11, vcc, v5, v11, vcc
	v_or_b32_e32 v5, s17, v11
	v_mov_b32_e32 v4, 0
	v_cmp_ne_u64_e32 vcc, 0, v[4:5]
                                        ; implicit-def: $vgpr4_vgpr5
	s_and_saveexec_b64 s[0:1], vcc
	s_xor_b64 s[2:3], exec, s[0:1]
	s_cbranch_execz .LBB19_19
; %bb.18:
	s_ashr_i32 s6, s17, 31
	s_add_u32 s0, s16, s6
	s_mov_b32 s7, s6
	s_addc_u32 s1, s17, s6
	s_xor_b64 s[12:13], s[0:1], s[6:7]
	v_cvt_f32_u32_e32 v4, s12
	v_cvt_f32_u32_e32 v5, s13
	s_sub_u32 s7, 0, s12
	s_subb_u32 s18, 0, s13
	v_ashrrev_i32_e32 v16, 31, v11
	v_madmk_f32 v4, v5, 0x4f800000, v4
	v_rcp_f32_e32 v4, v4
	v_mul_f32_e32 v4, 0x5f7ffffc, v4
	v_mul_f32_e32 v5, 0x2f800000, v4
	v_trunc_f32_e32 v5, v5
	v_madmk_f32 v4, v5, 0xcf800000, v4
	v_cvt_u32_f32_e32 v5, v5
	v_cvt_u32_f32_e32 v4, v4
	v_readfirstlane_b32 s19, v5
	v_readfirstlane_b32 s0, v4
	s_mul_i32 s1, s7, s19
	s_mul_hi_u32 s25, s7, s0
	s_mul_i32 s24, s18, s0
	s_add_i32 s1, s25, s1
	s_add_i32 s1, s1, s24
	s_mul_i32 s26, s7, s0
	s_mul_i32 s25, s0, s1
	s_mul_hi_u32 s27, s0, s26
	s_mul_hi_u32 s24, s0, s1
	s_add_u32 s25, s27, s25
	s_addc_u32 s24, 0, s24
	s_mul_hi_u32 s28, s19, s26
	s_mul_i32 s26, s19, s26
	s_add_u32 s25, s25, s26
	s_mul_hi_u32 s27, s19, s1
	s_addc_u32 s24, s24, s28
	s_addc_u32 s25, s27, 0
	s_mul_i32 s1, s19, s1
	s_add_u32 s1, s24, s1
	s_addc_u32 s24, 0, s25
	s_add_u32 s25, s0, s1
	s_cselect_b64 s[0:1], -1, 0
	s_cmp_lg_u64 s[0:1], 0
	s_addc_u32 s19, s19, s24
	s_mul_i32 s0, s7, s19
	s_mul_hi_u32 s1, s7, s25
	s_add_i32 s0, s1, s0
	s_mul_i32 s18, s18, s25
	s_add_i32 s0, s0, s18
	s_mul_i32 s7, s7, s25
	s_mul_hi_u32 s18, s19, s7
	s_mul_i32 s24, s19, s7
	s_mul_i32 s27, s25, s0
	s_mul_hi_u32 s7, s25, s7
	s_mul_hi_u32 s26, s25, s0
	s_add_u32 s7, s7, s27
	s_addc_u32 s26, 0, s26
	s_add_u32 s7, s7, s24
	s_mul_hi_u32 s1, s19, s0
	s_addc_u32 s7, s26, s18
	s_addc_u32 s1, s1, 0
	s_mul_i32 s0, s19, s0
	s_add_u32 s0, s7, s0
	s_addc_u32 s7, 0, s1
	s_add_u32 s18, s25, s0
	s_cselect_b64 s[0:1], -1, 0
	s_cmp_lg_u64 s[0:1], 0
	v_add_co_u32_e32 v4, vcc, v10, v16
	s_addc_u32 s7, s19, s7
	v_xor_b32_e32 v17, v4, v16
	v_mad_u64_u32 v[4:5], s[0:1], v17, s7, 0
	v_mul_hi_u32 v15, v17, s18
	v_addc_co_u32_e32 v14, vcc, v11, v16, vcc
	v_xor_b32_e32 v18, v14, v16
	v_add_co_u32_e32 v19, vcc, v15, v4
	v_addc_co_u32_e32 v20, vcc, 0, v5, vcc
	v_mad_u64_u32 v[4:5], s[0:1], v18, s18, 0
	v_mad_u64_u32 v[14:15], s[0:1], v18, s7, 0
	v_add_co_u32_e32 v4, vcc, v19, v4
	v_addc_co_u32_e32 v4, vcc, v20, v5, vcc
	v_addc_co_u32_e32 v5, vcc, 0, v15, vcc
	v_add_co_u32_e32 v14, vcc, v4, v14
	v_addc_co_u32_e32 v15, vcc, 0, v5, vcc
	v_mul_lo_u32 v19, s13, v14
	v_mul_lo_u32 v20, s12, v15
	v_mad_u64_u32 v[4:5], s[0:1], s12, v14, 0
	v_add3_u32 v5, v5, v20, v19
	v_sub_u32_e32 v19, v18, v5
	v_mov_b32_e32 v20, s13
	v_sub_co_u32_e32 v4, vcc, v17, v4
	v_subb_co_u32_e64 v17, s[0:1], v19, v20, vcc
	v_subrev_co_u32_e64 v19, s[0:1], s12, v4
	v_subbrev_co_u32_e64 v17, s[0:1], 0, v17, s[0:1]
	v_cmp_le_u32_e64 s[0:1], s13, v17
	v_cndmask_b32_e64 v20, 0, -1, s[0:1]
	v_cmp_le_u32_e64 s[0:1], s12, v19
	v_cndmask_b32_e64 v19, 0, -1, s[0:1]
	v_cmp_eq_u32_e64 s[0:1], s13, v17
	v_cndmask_b32_e64 v17, v20, v19, s[0:1]
	v_add_co_u32_e64 v19, s[0:1], 2, v14
	v_subb_co_u32_e32 v5, vcc, v18, v5, vcc
	v_addc_co_u32_e64 v20, s[0:1], 0, v15, s[0:1]
	v_cmp_le_u32_e32 vcc, s13, v5
	v_add_co_u32_e64 v21, s[0:1], 1, v14
	v_cndmask_b32_e64 v18, 0, -1, vcc
	v_cmp_le_u32_e32 vcc, s12, v4
	v_addc_co_u32_e64 v22, s[0:1], 0, v15, s[0:1]
	v_cndmask_b32_e64 v4, 0, -1, vcc
	v_cmp_eq_u32_e32 vcc, s13, v5
	v_cmp_ne_u32_e64 s[0:1], 0, v17
	v_cndmask_b32_e32 v4, v18, v4, vcc
	v_cndmask_b32_e64 v17, v22, v20, s[0:1]
	v_cmp_ne_u32_e32 vcc, 0, v4
	v_cndmask_b32_e64 v5, v21, v19, s[0:1]
	v_cndmask_b32_e32 v4, v15, v17, vcc
	v_cndmask_b32_e32 v5, v14, v5, vcc
	v_xor_b32_e32 v14, s6, v16
	v_xor_b32_e32 v15, v4, v14
	;; [unrolled: 1-line block ×3, first 2 shown]
	v_sub_co_u32_e32 v4, vcc, v4, v14
	v_subb_co_u32_e32 v5, vcc, v15, v14, vcc
.LBB19_19:
	s_andn2_saveexec_b64 s[0:1], s[2:3]
	s_cbranch_execz .LBB19_21
; %bb.20:
	v_cvt_f32_u32_e32 v4, s16
	s_sub_i32 s2, 0, s16
	v_rcp_iflag_f32_e32 v4, v4
	v_mul_f32_e32 v4, 0x4f7ffffe, v4
	v_cvt_u32_f32_e32 v4, v4
	v_mul_lo_u32 v5, s2, v4
	v_mul_hi_u32 v5, v4, v5
	v_add_u32_e32 v4, v4, v5
	v_mul_hi_u32 v4, v10, v4
	v_mul_lo_u32 v5, v4, s16
	v_add_u32_e32 v14, 1, v4
	v_sub_u32_e32 v5, v10, v5
	v_subrev_u32_e32 v15, s16, v5
	v_cmp_le_u32_e32 vcc, s16, v5
	v_cndmask_b32_e32 v5, v5, v15, vcc
	v_cndmask_b32_e32 v4, v4, v14, vcc
	v_add_u32_e32 v14, 1, v4
	v_cmp_le_u32_e32 vcc, s16, v5
	v_cndmask_b32_e32 v4, v4, v14, vcc
	v_mov_b32_e32 v5, 0
.LBB19_21:
	s_or_b64 exec, exec, s[0:1]
	v_mul_lo_u32 v16, s17, v4
	v_mul_lo_u32 v17, s16, v5
	v_mad_u64_u32 v[14:15], s[0:1], s16, v4, 0
	v_add3_u32 v15, v15, v17, v16
	v_sub_co_u32_e32 v14, vcc, v10, v14
	v_subb_co_u32_e32 v15, vcc, v11, v15, vcc
	v_or_b32_e32 v11, s41, v15
	v_mov_b32_e32 v10, 0
	v_cmp_ne_u64_e32 vcc, 0, v[10:11]
                                        ; implicit-def: $vgpr10_vgpr11
	s_and_saveexec_b64 s[0:1], vcc
	s_xor_b64 s[2:3], exec, s[0:1]
	s_cbranch_execz .LBB19_23
; %bb.22:
	s_ashr_i32 s6, s41, 31
	s_add_u32 s0, s40, s6
	s_mov_b32 s7, s6
	s_addc_u32 s1, s41, s6
	s_xor_b64 s[12:13], s[0:1], s[6:7]
	v_cvt_f32_u32_e32 v10, s12
	v_cvt_f32_u32_e32 v11, s13
	s_sub_u32 s7, 0, s12
	s_subb_u32 s16, 0, s13
	v_ashrrev_i32_e32 v18, 31, v15
	v_madmk_f32 v10, v11, 0x4f800000, v10
	v_rcp_f32_e32 v10, v10
	v_mul_f32_e32 v10, 0x5f7ffffc, v10
	v_mul_f32_e32 v11, 0x2f800000, v10
	v_trunc_f32_e32 v11, v11
	v_madmk_f32 v10, v11, 0xcf800000, v10
	v_cvt_u32_f32_e32 v11, v11
	v_cvt_u32_f32_e32 v10, v10
	v_readfirstlane_b32 s17, v11
	v_readfirstlane_b32 s0, v10
	s_mul_i32 s1, s7, s17
	s_mul_hi_u32 s19, s7, s0
	s_mul_i32 s18, s16, s0
	s_add_i32 s1, s19, s1
	s_add_i32 s1, s1, s18
	s_mul_i32 s24, s7, s0
	s_mul_i32 s19, s0, s1
	s_mul_hi_u32 s25, s0, s24
	s_mul_hi_u32 s18, s0, s1
	s_add_u32 s19, s25, s19
	s_addc_u32 s18, 0, s18
	s_mul_hi_u32 s26, s17, s24
	s_mul_i32 s24, s17, s24
	s_add_u32 s19, s19, s24
	s_mul_hi_u32 s25, s17, s1
	s_addc_u32 s18, s18, s26
	s_addc_u32 s19, s25, 0
	s_mul_i32 s1, s17, s1
	s_add_u32 s1, s18, s1
	s_addc_u32 s18, 0, s19
	s_add_u32 s19, s0, s1
	s_cselect_b64 s[0:1], -1, 0
	s_cmp_lg_u64 s[0:1], 0
	s_addc_u32 s17, s17, s18
	s_mul_i32 s0, s7, s17
	s_mul_hi_u32 s1, s7, s19
	s_add_i32 s0, s1, s0
	s_mul_i32 s16, s16, s19
	s_add_i32 s0, s0, s16
	s_mul_i32 s7, s7, s19
	s_mul_hi_u32 s16, s17, s7
	s_mul_i32 s18, s17, s7
	s_mul_i32 s25, s19, s0
	s_mul_hi_u32 s7, s19, s7
	s_mul_hi_u32 s24, s19, s0
	s_add_u32 s7, s7, s25
	s_addc_u32 s24, 0, s24
	s_add_u32 s7, s7, s18
	s_mul_hi_u32 s1, s17, s0
	s_addc_u32 s7, s24, s16
	s_addc_u32 s1, s1, 0
	s_mul_i32 s0, s17, s0
	s_add_u32 s0, s7, s0
	s_addc_u32 s7, 0, s1
	s_add_u32 s16, s19, s0
	s_cselect_b64 s[0:1], -1, 0
	s_cmp_lg_u64 s[0:1], 0
	v_add_co_u32_e32 v10, vcc, v14, v18
	s_addc_u32 s7, s17, s7
	v_xor_b32_e32 v19, v10, v18
	v_mad_u64_u32 v[10:11], s[0:1], v19, s7, 0
	v_mul_hi_u32 v17, v19, s16
	v_addc_co_u32_e32 v16, vcc, v15, v18, vcc
	v_xor_b32_e32 v20, v16, v18
	v_add_co_u32_e32 v21, vcc, v17, v10
	v_addc_co_u32_e32 v22, vcc, 0, v11, vcc
	v_mad_u64_u32 v[10:11], s[0:1], v20, s16, 0
	v_mad_u64_u32 v[16:17], s[0:1], v20, s7, 0
	v_add_co_u32_e32 v10, vcc, v21, v10
	v_addc_co_u32_e32 v10, vcc, v22, v11, vcc
	v_addc_co_u32_e32 v11, vcc, 0, v17, vcc
	v_add_co_u32_e32 v16, vcc, v10, v16
	v_addc_co_u32_e32 v17, vcc, 0, v11, vcc
	v_mul_lo_u32 v21, s13, v16
	v_mul_lo_u32 v22, s12, v17
	v_mad_u64_u32 v[10:11], s[0:1], s12, v16, 0
	v_add3_u32 v11, v11, v22, v21
	v_sub_u32_e32 v21, v20, v11
	v_mov_b32_e32 v22, s13
	v_sub_co_u32_e32 v10, vcc, v19, v10
	v_subb_co_u32_e64 v19, s[0:1], v21, v22, vcc
	v_subrev_co_u32_e64 v21, s[0:1], s12, v10
	v_subbrev_co_u32_e64 v19, s[0:1], 0, v19, s[0:1]
	v_cmp_le_u32_e64 s[0:1], s13, v19
	v_cndmask_b32_e64 v22, 0, -1, s[0:1]
	v_cmp_le_u32_e64 s[0:1], s12, v21
	v_cndmask_b32_e64 v21, 0, -1, s[0:1]
	v_cmp_eq_u32_e64 s[0:1], s13, v19
	v_cndmask_b32_e64 v19, v22, v21, s[0:1]
	v_add_co_u32_e64 v21, s[0:1], 2, v16
	v_subb_co_u32_e32 v11, vcc, v20, v11, vcc
	v_addc_co_u32_e64 v22, s[0:1], 0, v17, s[0:1]
	v_cmp_le_u32_e32 vcc, s13, v11
	v_add_co_u32_e64 v23, s[0:1], 1, v16
	v_cndmask_b32_e64 v20, 0, -1, vcc
	v_cmp_le_u32_e32 vcc, s12, v10
	v_addc_co_u32_e64 v24, s[0:1], 0, v17, s[0:1]
	v_cndmask_b32_e64 v10, 0, -1, vcc
	v_cmp_eq_u32_e32 vcc, s13, v11
	v_cmp_ne_u32_e64 s[0:1], 0, v19
	v_cndmask_b32_e32 v10, v20, v10, vcc
	v_cndmask_b32_e64 v19, v24, v22, s[0:1]
	v_cmp_ne_u32_e32 vcc, 0, v10
	v_cndmask_b32_e64 v11, v23, v21, s[0:1]
	v_cndmask_b32_e32 v10, v17, v19, vcc
	v_cndmask_b32_e32 v11, v16, v11, vcc
	v_xor_b32_e32 v16, s6, v18
	v_xor_b32_e32 v17, v10, v16
	;; [unrolled: 1-line block ×3, first 2 shown]
	v_sub_co_u32_e32 v10, vcc, v10, v16
	v_subb_co_u32_e32 v11, vcc, v17, v16, vcc
.LBB19_23:
	s_andn2_saveexec_b64 s[0:1], s[2:3]
	s_cbranch_execz .LBB19_25
; %bb.24:
	v_cvt_f32_u32_e32 v10, s40
	s_sub_i32 s2, 0, s40
	v_rcp_iflag_f32_e32 v10, v10
	v_mul_f32_e32 v10, 0x4f7ffffe, v10
	v_cvt_u32_f32_e32 v10, v10
	v_mul_lo_u32 v11, s2, v10
	v_mul_hi_u32 v11, v10, v11
	v_add_u32_e32 v10, v10, v11
	v_mul_hi_u32 v10, v14, v10
	v_mul_lo_u32 v11, v10, s40
	v_add_u32_e32 v16, 1, v10
	v_sub_u32_e32 v11, v14, v11
	v_subrev_u32_e32 v17, s40, v11
	v_cmp_le_u32_e32 vcc, s40, v11
	v_cndmask_b32_e32 v11, v11, v17, vcc
	v_cndmask_b32_e32 v10, v10, v16, vcc
	v_add_u32_e32 v16, 1, v10
	v_cmp_le_u32_e32 vcc, s40, v11
	v_cndmask_b32_e32 v10, v10, v16, vcc
	v_mov_b32_e32 v11, 0
.LBB19_25:
	s_or_b64 exec, exec, s[0:1]
	v_mul_lo_u32 v18, v7, s14
	v_mul_lo_u32 v19, v6, s15
	v_mad_u64_u32 v[16:17], s[0:1], v6, s14, 0
	v_mul_lo_u32 v7, v7, s22
	v_mul_lo_u32 v3, v3, s36
	v_add3_u32 v17, v17, v19, v18
	v_sub_co_u32_e32 v16, vcc, v12, v16
	v_subb_co_u32_e32 v17, vcc, v13, v17, vcc
	v_mov_b32_e32 v12, s8
	v_mov_b32_e32 v13, s9
	v_mul_lo_u32 v18, v16, s21
	v_mul_lo_u32 v17, v17, s20
	v_mad_u64_u32 v[12:13], s[0:1], v16, s20, v[12:13]
	v_mul_lo_u32 v1, v1, s38
	v_add3_u32 v13, v17, v13, v18
	v_mad_u64_u32 v[12:13], s[0:1], v6, s22, v[12:13]
	v_mul_lo_u32 v6, v6, s23
	v_add3_u32 v13, v7, v13, v6
	v_mad_u64_u32 v[6:7], s[0:1], v2, s36, v[12:13]
	v_mul_lo_u32 v2, v2, s37
	v_mul_lo_u32 v12, v10, s41
	v_add3_u32 v7, v3, v7, v2
	v_mad_u64_u32 v[2:3], s[0:1], v0, s38, v[6:7]
	v_mul_lo_u32 v0, v0, s39
	v_mul_lo_u32 v7, v11, s40
	v_add3_u32 v3, v1, v3, v0
	global_load_ushort v6, v[2:3], off
	v_mad_u64_u32 v[0:1], s[0:1], v10, s40, 0
	v_mov_b32_e32 v2, s10
	v_mov_b32_e32 v3, s11
	v_add3_u32 v1, v1, v12, v7
	v_sub_co_u32_e32 v0, vcc, v14, v0
	v_subb_co_u32_e32 v1, vcc, v15, v1, vcc
	v_mul_lo_u32 v7, v0, s47
	v_mul_lo_u32 v12, v1, s46
	v_mad_u64_u32 v[0:1], s[0:1], v0, s46, v[2:3]
	v_mul_lo_u32 v2, v10, s49
	v_mul_lo_u32 v3, v11, s48
	v_add3_u32 v1, v12, v1, v7
	v_mad_u64_u32 v[0:1], s[0:1], v10, s48, v[0:1]
	v_add3_u32 v1, v3, v1, v2
	v_mad_u64_u32 v[0:1], s[0:1], v4, s50, v[0:1]
	v_mul_lo_u32 v2, v4, s51
	v_mul_lo_u32 v3, v5, s50
	s_load_dwordx2 s[0:1], s[4:5], 0x80
	v_add3_u32 v1, v3, v1, v2
	s_waitcnt lgkmcnt(0)
	v_mad_u64_u32 v[0:1], s[2:3], v8, s0, v[0:1]
	v_mul_lo_u32 v2, v8, s1
	v_mul_lo_u32 v3, v9, s0
	v_add3_u32 v1, v3, v1, v2
	s_waitcnt vmcnt(0)
	global_store_short v[0:1], v6, off
.LBB19_26:
	s_endpgm
	.section	.rodata,"a",@progbits
	.p2align	6, 0x0
	.amdhsa_kernel _ZL10cpy_scalarIXadL_ZL12cpy_1_scalarI6__halfS1_EvPKcPcEEEvS3_S4_lllllllllllllll
		.amdhsa_group_segment_fixed_size 0
		.amdhsa_private_segment_fixed_size 0
		.amdhsa_kernarg_size 392
		.amdhsa_user_sgpr_count 6
		.amdhsa_user_sgpr_private_segment_buffer 1
		.amdhsa_user_sgpr_dispatch_ptr 0
		.amdhsa_user_sgpr_queue_ptr 0
		.amdhsa_user_sgpr_kernarg_segment_ptr 1
		.amdhsa_user_sgpr_dispatch_id 0
		.amdhsa_user_sgpr_flat_scratch_init 0
		.amdhsa_user_sgpr_private_segment_size 0
		.amdhsa_uses_dynamic_stack 0
		.amdhsa_system_sgpr_private_segment_wavefront_offset 0
		.amdhsa_system_sgpr_workgroup_id_x 1
		.amdhsa_system_sgpr_workgroup_id_y 0
		.amdhsa_system_sgpr_workgroup_id_z 0
		.amdhsa_system_sgpr_workgroup_info 0
		.amdhsa_system_vgpr_workitem_id 0
		.amdhsa_next_free_vgpr 25
		.amdhsa_next_free_sgpr 52
		.amdhsa_reserve_vcc 1
		.amdhsa_reserve_flat_scratch 0
		.amdhsa_float_round_mode_32 0
		.amdhsa_float_round_mode_16_64 0
		.amdhsa_float_denorm_mode_32 3
		.amdhsa_float_denorm_mode_16_64 3
		.amdhsa_dx10_clamp 1
		.amdhsa_ieee_mode 1
		.amdhsa_fp16_overflow 0
		.amdhsa_exception_fp_ieee_invalid_op 0
		.amdhsa_exception_fp_denorm_src 0
		.amdhsa_exception_fp_ieee_div_zero 0
		.amdhsa_exception_fp_ieee_overflow 0
		.amdhsa_exception_fp_ieee_underflow 0
		.amdhsa_exception_fp_ieee_inexact 0
		.amdhsa_exception_int_div_zero 0
	.end_amdhsa_kernel
	.section	.text._ZL10cpy_scalarIXadL_ZL12cpy_1_scalarI6__halfS1_EvPKcPcEEEvS3_S4_lllllllllllllll,"axG",@progbits,_ZL10cpy_scalarIXadL_ZL12cpy_1_scalarI6__halfS1_EvPKcPcEEEvS3_S4_lllllllllllllll,comdat
.Lfunc_end19:
	.size	_ZL10cpy_scalarIXadL_ZL12cpy_1_scalarI6__halfS1_EvPKcPcEEEvS3_S4_lllllllllllllll, .Lfunc_end19-_ZL10cpy_scalarIXadL_ZL12cpy_1_scalarI6__halfS1_EvPKcPcEEEvS3_S4_lllllllllllllll
                                        ; -- End function
	.set _ZL10cpy_scalarIXadL_ZL12cpy_1_scalarI6__halfS1_EvPKcPcEEEvS3_S4_lllllllllllllll.num_vgpr, 25
	.set _ZL10cpy_scalarIXadL_ZL12cpy_1_scalarI6__halfS1_EvPKcPcEEEvS3_S4_lllllllllllllll.num_agpr, 0
	.set _ZL10cpy_scalarIXadL_ZL12cpy_1_scalarI6__halfS1_EvPKcPcEEEvS3_S4_lllllllllllllll.numbered_sgpr, 52
	.set _ZL10cpy_scalarIXadL_ZL12cpy_1_scalarI6__halfS1_EvPKcPcEEEvS3_S4_lllllllllllllll.num_named_barrier, 0
	.set _ZL10cpy_scalarIXadL_ZL12cpy_1_scalarI6__halfS1_EvPKcPcEEEvS3_S4_lllllllllllllll.private_seg_size, 0
	.set _ZL10cpy_scalarIXadL_ZL12cpy_1_scalarI6__halfS1_EvPKcPcEEEvS3_S4_lllllllllllllll.uses_vcc, 1
	.set _ZL10cpy_scalarIXadL_ZL12cpy_1_scalarI6__halfS1_EvPKcPcEEEvS3_S4_lllllllllllllll.uses_flat_scratch, 0
	.set _ZL10cpy_scalarIXadL_ZL12cpy_1_scalarI6__halfS1_EvPKcPcEEEvS3_S4_lllllllllllllll.has_dyn_sized_stack, 0
	.set _ZL10cpy_scalarIXadL_ZL12cpy_1_scalarI6__halfS1_EvPKcPcEEEvS3_S4_lllllllllllllll.has_recursion, 0
	.set _ZL10cpy_scalarIXadL_ZL12cpy_1_scalarI6__halfS1_EvPKcPcEEEvS3_S4_lllllllllllllll.has_indirect_call, 0
	.section	.AMDGPU.csdata,"",@progbits
; Kernel info:
; codeLenInByte = 5196
; TotalNumSgprs: 56
; NumVgprs: 25
; ScratchSize: 0
; MemoryBound: 0
; FloatMode: 240
; IeeeMode: 1
; LDSByteSize: 0 bytes/workgroup (compile time only)
; SGPRBlocks: 6
; VGPRBlocks: 6
; NumSGPRsForWavesPerEU: 56
; NumVGPRsForWavesPerEU: 25
; Occupancy: 9
; WaveLimiterHint : 0
; COMPUTE_PGM_RSRC2:SCRATCH_EN: 0
; COMPUTE_PGM_RSRC2:USER_SGPR: 6
; COMPUTE_PGM_RSRC2:TRAP_HANDLER: 0
; COMPUTE_PGM_RSRC2:TGID_X_EN: 1
; COMPUTE_PGM_RSRC2:TGID_Y_EN: 0
; COMPUTE_PGM_RSRC2:TGID_Z_EN: 0
; COMPUTE_PGM_RSRC2:TIDIG_COMP_CNT: 0
	.section	.text._ZL21cpy_scalar_contiguousI6__half14__hip_bfloat16EvPKcPcl,"axG",@progbits,_ZL21cpy_scalar_contiguousI6__half14__hip_bfloat16EvPKcPcl,comdat
	.globl	_ZL21cpy_scalar_contiguousI6__half14__hip_bfloat16EvPKcPcl ; -- Begin function _ZL21cpy_scalar_contiguousI6__half14__hip_bfloat16EvPKcPcl
	.p2align	8
	.type	_ZL21cpy_scalar_contiguousI6__half14__hip_bfloat16EvPKcPcl,@function
_ZL21cpy_scalar_contiguousI6__half14__hip_bfloat16EvPKcPcl: ; @_ZL21cpy_scalar_contiguousI6__half14__hip_bfloat16EvPKcPcl
; %bb.0:
	s_load_dword s2, s[4:5], 0x24
	s_load_dwordx2 s[0:1], s[4:5], 0x10
	v_mov_b32_e32 v1, 0
	v_mov_b32_e32 v2, s6
	s_waitcnt lgkmcnt(0)
	s_and_b32 s2, s2, 0xffff
	v_mad_u64_u32 v[0:1], s[2:3], s2, v2, v[0:1]
	v_cmp_gt_i64_e32 vcc, s[0:1], v[0:1]
	s_and_saveexec_b64 s[0:1], vcc
	s_cbranch_execz .LBB20_2
; %bb.1:
	s_load_dwordx4 s[0:3], s[4:5], 0x0
	v_lshlrev_b64 v[0:1], 1, v[0:1]
	s_waitcnt lgkmcnt(0)
	v_mov_b32_e32 v3, s1
	v_add_co_u32_e32 v2, vcc, s0, v0
	v_addc_co_u32_e32 v3, vcc, v3, v1, vcc
	global_load_ushort v2, v[2:3], off
	s_movk_i32 s0, 0x7fff
	v_mov_b32_e32 v3, s3
	s_waitcnt vmcnt(0)
	v_cvt_f32_f16_e32 v2, v2
	v_bfe_u32 v4, v2, 16, 1
	v_or_b32_e32 v5, 0x400000, v2
	v_add3_u32 v4, v4, v2, s0
	v_cmp_u_f32_e32 vcc, v2, v2
	v_cndmask_b32_e32 v2, v4, v5, vcc
	v_add_co_u32_e32 v0, vcc, s2, v0
	v_addc_co_u32_e32 v1, vcc, v3, v1, vcc
	global_store_short_d16_hi v[0:1], v2, off
.LBB20_2:
	s_endpgm
	.section	.rodata,"a",@progbits
	.p2align	6, 0x0
	.amdhsa_kernel _ZL21cpy_scalar_contiguousI6__half14__hip_bfloat16EvPKcPcl
		.amdhsa_group_segment_fixed_size 0
		.amdhsa_private_segment_fixed_size 0
		.amdhsa_kernarg_size 280
		.amdhsa_user_sgpr_count 6
		.amdhsa_user_sgpr_private_segment_buffer 1
		.amdhsa_user_sgpr_dispatch_ptr 0
		.amdhsa_user_sgpr_queue_ptr 0
		.amdhsa_user_sgpr_kernarg_segment_ptr 1
		.amdhsa_user_sgpr_dispatch_id 0
		.amdhsa_user_sgpr_flat_scratch_init 0
		.amdhsa_user_sgpr_private_segment_size 0
		.amdhsa_uses_dynamic_stack 0
		.amdhsa_system_sgpr_private_segment_wavefront_offset 0
		.amdhsa_system_sgpr_workgroup_id_x 1
		.amdhsa_system_sgpr_workgroup_id_y 0
		.amdhsa_system_sgpr_workgroup_id_z 0
		.amdhsa_system_sgpr_workgroup_info 0
		.amdhsa_system_vgpr_workitem_id 0
		.amdhsa_next_free_vgpr 6
		.amdhsa_next_free_sgpr 7
		.amdhsa_reserve_vcc 1
		.amdhsa_reserve_flat_scratch 0
		.amdhsa_float_round_mode_32 0
		.amdhsa_float_round_mode_16_64 0
		.amdhsa_float_denorm_mode_32 3
		.amdhsa_float_denorm_mode_16_64 3
		.amdhsa_dx10_clamp 1
		.amdhsa_ieee_mode 1
		.amdhsa_fp16_overflow 0
		.amdhsa_exception_fp_ieee_invalid_op 0
		.amdhsa_exception_fp_denorm_src 0
		.amdhsa_exception_fp_ieee_div_zero 0
		.amdhsa_exception_fp_ieee_overflow 0
		.amdhsa_exception_fp_ieee_underflow 0
		.amdhsa_exception_fp_ieee_inexact 0
		.amdhsa_exception_int_div_zero 0
	.end_amdhsa_kernel
	.section	.text._ZL21cpy_scalar_contiguousI6__half14__hip_bfloat16EvPKcPcl,"axG",@progbits,_ZL21cpy_scalar_contiguousI6__half14__hip_bfloat16EvPKcPcl,comdat
.Lfunc_end20:
	.size	_ZL21cpy_scalar_contiguousI6__half14__hip_bfloat16EvPKcPcl, .Lfunc_end20-_ZL21cpy_scalar_contiguousI6__half14__hip_bfloat16EvPKcPcl
                                        ; -- End function
	.set _ZL21cpy_scalar_contiguousI6__half14__hip_bfloat16EvPKcPcl.num_vgpr, 6
	.set _ZL21cpy_scalar_contiguousI6__half14__hip_bfloat16EvPKcPcl.num_agpr, 0
	.set _ZL21cpy_scalar_contiguousI6__half14__hip_bfloat16EvPKcPcl.numbered_sgpr, 7
	.set _ZL21cpy_scalar_contiguousI6__half14__hip_bfloat16EvPKcPcl.num_named_barrier, 0
	.set _ZL21cpy_scalar_contiguousI6__half14__hip_bfloat16EvPKcPcl.private_seg_size, 0
	.set _ZL21cpy_scalar_contiguousI6__half14__hip_bfloat16EvPKcPcl.uses_vcc, 1
	.set _ZL21cpy_scalar_contiguousI6__half14__hip_bfloat16EvPKcPcl.uses_flat_scratch, 0
	.set _ZL21cpy_scalar_contiguousI6__half14__hip_bfloat16EvPKcPcl.has_dyn_sized_stack, 0
	.set _ZL21cpy_scalar_contiguousI6__half14__hip_bfloat16EvPKcPcl.has_recursion, 0
	.set _ZL21cpy_scalar_contiguousI6__half14__hip_bfloat16EvPKcPcl.has_indirect_call, 0
	.section	.AMDGPU.csdata,"",@progbits
; Kernel info:
; codeLenInByte = 164
; TotalNumSgprs: 11
; NumVgprs: 6
; ScratchSize: 0
; MemoryBound: 0
; FloatMode: 240
; IeeeMode: 1
; LDSByteSize: 0 bytes/workgroup (compile time only)
; SGPRBlocks: 1
; VGPRBlocks: 1
; NumSGPRsForWavesPerEU: 11
; NumVGPRsForWavesPerEU: 6
; Occupancy: 10
; WaveLimiterHint : 0
; COMPUTE_PGM_RSRC2:SCRATCH_EN: 0
; COMPUTE_PGM_RSRC2:USER_SGPR: 6
; COMPUTE_PGM_RSRC2:TRAP_HANDLER: 0
; COMPUTE_PGM_RSRC2:TGID_X_EN: 1
; COMPUTE_PGM_RSRC2:TGID_Y_EN: 0
; COMPUTE_PGM_RSRC2:TGID_Z_EN: 0
; COMPUTE_PGM_RSRC2:TIDIG_COMP_CNT: 0
	.section	.text._ZL10cpy_scalarIXadL_ZL12cpy_1_scalarI6__half14__hip_bfloat16EvPKcPcEEEvS4_S5_lllllllllllllll,"axG",@progbits,_ZL10cpy_scalarIXadL_ZL12cpy_1_scalarI6__half14__hip_bfloat16EvPKcPcEEEvS4_S5_lllllllllllllll,comdat
	.globl	_ZL10cpy_scalarIXadL_ZL12cpy_1_scalarI6__half14__hip_bfloat16EvPKcPcEEEvS4_S5_lllllllllllllll ; -- Begin function _ZL10cpy_scalarIXadL_ZL12cpy_1_scalarI6__half14__hip_bfloat16EvPKcPcEEEvS4_S5_lllllllllllllll
	.p2align	8
	.type	_ZL10cpy_scalarIXadL_ZL12cpy_1_scalarI6__half14__hip_bfloat16EvPKcPcEEEvS4_S5_lllllllllllllll,@function
_ZL10cpy_scalarIXadL_ZL12cpy_1_scalarI6__half14__hip_bfloat16EvPKcPcEEEvS4_S5_lllllllllllllll: ; @_ZL10cpy_scalarIXadL_ZL12cpy_1_scalarI6__half14__hip_bfloat16EvPKcPcEEEvS4_S5_lllllllllllllll
; %bb.0:
	s_load_dword s0, s[4:5], 0x94
	v_mov_b32_e32 v2, 0
	s_load_dwordx16 s[8:23], s[4:5], 0x0
	v_mov_b32_e32 v1, v2
	v_mov_b32_e32 v3, s6
	s_waitcnt lgkmcnt(0)
	s_and_b32 s0, s0, 0xffff
	v_mad_u64_u32 v[4:5], s[0:1], s0, v3, v[0:1]
	v_cmp_gt_i64_e32 vcc, s[12:13], v[4:5]
	s_and_saveexec_b64 s[0:1], vcc
	s_cbranch_execz .LBB21_26
; %bb.1:
	s_mul_i32 s0, s16, s15
	s_mul_hi_u32 s1, s16, s14
	s_add_i32 s0, s1, s0
	s_mul_i32 s1, s17, s14
	s_mul_i32 s16, s16, s14
	s_add_i32 s17, s0, s1
	s_mul_i32 s0, s16, s19
	s_mul_hi_u32 s1, s16, s18
	s_add_i32 s0, s1, s0
	s_mul_i32 s1, s17, s18
	s_add_i32 s19, s0, s1
	v_or_b32_e32 v3, s19, v5
	v_cmp_ne_u64_e32 vcc, 0, v[2:3]
	s_mul_i32 s18, s16, s18
	v_ashrrev_i32_e32 v10, 31, v5
                                        ; implicit-def: $vgpr0_vgpr1
	s_and_saveexec_b64 s[0:1], vcc
	s_xor_b64 s[2:3], exec, s[0:1]
	s_cbranch_execz .LBB21_3
; %bb.2:
	s_ashr_i32 s6, s19, 31
	s_add_u32 s0, s18, s6
	s_mov_b32 s7, s6
	s_addc_u32 s1, s19, s6
	s_xor_b64 s[12:13], s[0:1], s[6:7]
	v_cvt_f32_u32_e32 v0, s12
	v_cvt_f32_u32_e32 v1, s13
	s_sub_u32 s7, 0, s12
	s_subb_u32 s24, 0, s13
	v_madmk_f32 v0, v1, 0x4f800000, v0
	v_rcp_f32_e32 v0, v0
	v_mul_f32_e32 v0, 0x5f7ffffc, v0
	v_mul_f32_e32 v1, 0x2f800000, v0
	v_trunc_f32_e32 v1, v1
	v_madmk_f32 v0, v1, 0xcf800000, v0
	v_cvt_u32_f32_e32 v1, v1
	v_cvt_u32_f32_e32 v0, v0
	v_readfirstlane_b32 s25, v1
	v_readfirstlane_b32 s0, v0
	s_mul_i32 s1, s7, s25
	s_mul_hi_u32 s27, s7, s0
	s_mul_i32 s26, s24, s0
	s_add_i32 s1, s27, s1
	s_add_i32 s1, s1, s26
	s_mul_i32 s28, s7, s0
	s_mul_i32 s27, s0, s1
	s_mul_hi_u32 s29, s0, s28
	s_mul_hi_u32 s26, s0, s1
	s_add_u32 s27, s29, s27
	s_addc_u32 s26, 0, s26
	s_mul_hi_u32 s30, s25, s28
	s_mul_i32 s28, s25, s28
	s_add_u32 s27, s27, s28
	s_mul_hi_u32 s29, s25, s1
	s_addc_u32 s26, s26, s30
	s_addc_u32 s27, s29, 0
	s_mul_i32 s1, s25, s1
	s_add_u32 s1, s26, s1
	s_addc_u32 s26, 0, s27
	s_add_u32 s27, s0, s1
	s_cselect_b64 s[0:1], -1, 0
	s_cmp_lg_u64 s[0:1], 0
	s_addc_u32 s25, s25, s26
	s_mul_i32 s0, s7, s25
	s_mul_hi_u32 s1, s7, s27
	s_add_i32 s0, s1, s0
	s_mul_i32 s24, s24, s27
	s_add_i32 s0, s0, s24
	s_mul_i32 s7, s7, s27
	s_mul_hi_u32 s24, s25, s7
	s_mul_i32 s26, s25, s7
	s_mul_i32 s29, s27, s0
	s_mul_hi_u32 s7, s27, s7
	s_mul_hi_u32 s28, s27, s0
	s_add_u32 s7, s7, s29
	s_addc_u32 s28, 0, s28
	s_add_u32 s7, s7, s26
	s_mul_hi_u32 s1, s25, s0
	s_addc_u32 s7, s28, s24
	s_addc_u32 s1, s1, 0
	s_mul_i32 s0, s25, s0
	s_add_u32 s0, s7, s0
	s_addc_u32 s7, 0, s1
	s_add_u32 s24, s27, s0
	s_cselect_b64 s[0:1], -1, 0
	s_cmp_lg_u64 s[0:1], 0
	v_add_co_u32_e32 v0, vcc, v4, v10
	s_addc_u32 s7, s25, s7
	v_xor_b32_e32 v6, v0, v10
	v_mad_u64_u32 v[0:1], s[0:1], v6, s7, 0
	v_mul_hi_u32 v3, v6, s24
	v_addc_co_u32_e32 v2, vcc, v5, v10, vcc
	v_xor_b32_e32 v7, v2, v10
	v_add_co_u32_e32 v8, vcc, v3, v0
	v_addc_co_u32_e32 v9, vcc, 0, v1, vcc
	v_mad_u64_u32 v[0:1], s[0:1], v7, s24, 0
	v_mad_u64_u32 v[2:3], s[0:1], v7, s7, 0
	v_add_co_u32_e32 v0, vcc, v8, v0
	v_addc_co_u32_e32 v0, vcc, v9, v1, vcc
	v_addc_co_u32_e32 v1, vcc, 0, v3, vcc
	v_add_co_u32_e32 v2, vcc, v0, v2
	v_addc_co_u32_e32 v3, vcc, 0, v1, vcc
	v_mul_lo_u32 v8, s13, v2
	v_mul_lo_u32 v9, s12, v3
	v_mad_u64_u32 v[0:1], s[0:1], s12, v2, 0
	v_add3_u32 v1, v1, v9, v8
	v_sub_u32_e32 v8, v7, v1
	v_mov_b32_e32 v9, s13
	v_sub_co_u32_e32 v0, vcc, v6, v0
	v_subb_co_u32_e64 v6, s[0:1], v8, v9, vcc
	v_subrev_co_u32_e64 v8, s[0:1], s12, v0
	v_subbrev_co_u32_e64 v6, s[0:1], 0, v6, s[0:1]
	v_cmp_le_u32_e64 s[0:1], s13, v6
	v_cndmask_b32_e64 v9, 0, -1, s[0:1]
	v_cmp_le_u32_e64 s[0:1], s12, v8
	v_cndmask_b32_e64 v8, 0, -1, s[0:1]
	v_cmp_eq_u32_e64 s[0:1], s13, v6
	v_cndmask_b32_e64 v6, v9, v8, s[0:1]
	v_add_co_u32_e64 v8, s[0:1], 2, v2
	v_subb_co_u32_e32 v1, vcc, v7, v1, vcc
	v_addc_co_u32_e64 v9, s[0:1], 0, v3, s[0:1]
	v_cmp_le_u32_e32 vcc, s13, v1
	v_add_co_u32_e64 v11, s[0:1], 1, v2
	v_cndmask_b32_e64 v7, 0, -1, vcc
	v_cmp_le_u32_e32 vcc, s12, v0
	v_addc_co_u32_e64 v12, s[0:1], 0, v3, s[0:1]
	v_cndmask_b32_e64 v0, 0, -1, vcc
	v_cmp_eq_u32_e32 vcc, s13, v1
	v_cmp_ne_u32_e64 s[0:1], 0, v6
	v_cndmask_b32_e32 v0, v7, v0, vcc
	v_cndmask_b32_e64 v6, v12, v9, s[0:1]
	v_cmp_ne_u32_e32 vcc, 0, v0
	v_cndmask_b32_e64 v1, v11, v8, s[0:1]
	v_cndmask_b32_e32 v0, v3, v6, vcc
	v_cndmask_b32_e32 v1, v2, v1, vcc
	v_xor_b32_e32 v2, s6, v10
	v_xor_b32_e32 v3, v0, v2
	;; [unrolled: 1-line block ×3, first 2 shown]
	v_sub_co_u32_e32 v0, vcc, v0, v2
	v_subb_co_u32_e32 v1, vcc, v3, v2, vcc
.LBB21_3:
	s_andn2_saveexec_b64 s[0:1], s[2:3]
	s_cbranch_execz .LBB21_5
; %bb.4:
	v_cvt_f32_u32_e32 v0, s18
	s_sub_i32 s2, 0, s18
	v_rcp_iflag_f32_e32 v0, v0
	v_mul_f32_e32 v0, 0x4f7ffffe, v0
	v_cvt_u32_f32_e32 v0, v0
	v_mul_lo_u32 v1, s2, v0
	v_mul_hi_u32 v1, v0, v1
	v_add_u32_e32 v0, v0, v1
	v_mul_hi_u32 v0, v4, v0
	v_mul_lo_u32 v1, v0, s18
	v_add_u32_e32 v2, 1, v0
	v_sub_u32_e32 v1, v4, v1
	v_subrev_u32_e32 v3, s18, v1
	v_cmp_le_u32_e32 vcc, s18, v1
	v_cndmask_b32_e32 v1, v1, v3, vcc
	v_cndmask_b32_e32 v0, v0, v2, vcc
	v_add_u32_e32 v2, 1, v0
	v_cmp_le_u32_e32 vcc, s18, v1
	v_cndmask_b32_e32 v0, v0, v2, vcc
	v_mov_b32_e32 v1, 0
.LBB21_5:
	s_or_b64 exec, exec, s[0:1]
	v_mul_lo_u32 v6, s19, v0
	v_mul_lo_u32 v7, s18, v1
	v_mad_u64_u32 v[2:3], s[0:1], s18, v0, 0
	v_add3_u32 v3, v3, v7, v6
	v_sub_co_u32_e32 v6, vcc, v4, v2
	v_subb_co_u32_e32 v7, vcc, v5, v3, vcc
	v_or_b32_e32 v3, s17, v7
	v_mov_b32_e32 v2, 0
	v_cmp_ne_u64_e32 vcc, 0, v[2:3]
                                        ; implicit-def: $vgpr2_vgpr3
	s_and_saveexec_b64 s[0:1], vcc
	s_xor_b64 s[2:3], exec, s[0:1]
	s_cbranch_execz .LBB21_7
; %bb.6:
	s_ashr_i32 s6, s17, 31
	s_add_u32 s0, s16, s6
	s_mov_b32 s7, s6
	s_addc_u32 s1, s17, s6
	s_xor_b64 s[12:13], s[0:1], s[6:7]
	v_cvt_f32_u32_e32 v2, s12
	v_cvt_f32_u32_e32 v3, s13
	s_sub_u32 s7, 0, s12
	s_subb_u32 s18, 0, s13
	v_ashrrev_i32_e32 v11, 31, v7
	v_madmk_f32 v2, v3, 0x4f800000, v2
	v_rcp_f32_e32 v2, v2
	v_mul_f32_e32 v2, 0x5f7ffffc, v2
	v_mul_f32_e32 v3, 0x2f800000, v2
	v_trunc_f32_e32 v3, v3
	v_madmk_f32 v2, v3, 0xcf800000, v2
	v_cvt_u32_f32_e32 v3, v3
	v_cvt_u32_f32_e32 v2, v2
	v_readfirstlane_b32 s19, v3
	v_readfirstlane_b32 s0, v2
	s_mul_i32 s1, s7, s19
	s_mul_hi_u32 s25, s7, s0
	s_mul_i32 s24, s18, s0
	s_add_i32 s1, s25, s1
	s_add_i32 s1, s1, s24
	s_mul_i32 s26, s7, s0
	s_mul_i32 s25, s0, s1
	s_mul_hi_u32 s27, s0, s26
	s_mul_hi_u32 s24, s0, s1
	s_add_u32 s25, s27, s25
	s_addc_u32 s24, 0, s24
	s_mul_hi_u32 s28, s19, s26
	s_mul_i32 s26, s19, s26
	s_add_u32 s25, s25, s26
	s_mul_hi_u32 s27, s19, s1
	s_addc_u32 s24, s24, s28
	s_addc_u32 s25, s27, 0
	s_mul_i32 s1, s19, s1
	s_add_u32 s1, s24, s1
	s_addc_u32 s24, 0, s25
	s_add_u32 s25, s0, s1
	s_cselect_b64 s[0:1], -1, 0
	s_cmp_lg_u64 s[0:1], 0
	s_addc_u32 s19, s19, s24
	s_mul_i32 s0, s7, s19
	s_mul_hi_u32 s1, s7, s25
	s_add_i32 s0, s1, s0
	s_mul_i32 s18, s18, s25
	s_add_i32 s0, s0, s18
	s_mul_i32 s7, s7, s25
	s_mul_hi_u32 s18, s19, s7
	s_mul_i32 s24, s19, s7
	s_mul_i32 s27, s25, s0
	s_mul_hi_u32 s7, s25, s7
	s_mul_hi_u32 s26, s25, s0
	s_add_u32 s7, s7, s27
	s_addc_u32 s26, 0, s26
	s_add_u32 s7, s7, s24
	s_mul_hi_u32 s1, s19, s0
	s_addc_u32 s7, s26, s18
	s_addc_u32 s1, s1, 0
	s_mul_i32 s0, s19, s0
	s_add_u32 s0, s7, s0
	s_addc_u32 s7, 0, s1
	s_add_u32 s18, s25, s0
	s_cselect_b64 s[0:1], -1, 0
	s_cmp_lg_u64 s[0:1], 0
	v_add_co_u32_e32 v2, vcc, v6, v11
	s_addc_u32 s7, s19, s7
	v_xor_b32_e32 v12, v2, v11
	v_mad_u64_u32 v[2:3], s[0:1], v12, s7, 0
	v_mul_hi_u32 v9, v12, s18
	v_addc_co_u32_e32 v8, vcc, v7, v11, vcc
	v_xor_b32_e32 v13, v8, v11
	v_add_co_u32_e32 v14, vcc, v9, v2
	v_addc_co_u32_e32 v15, vcc, 0, v3, vcc
	v_mad_u64_u32 v[2:3], s[0:1], v13, s18, 0
	v_mad_u64_u32 v[8:9], s[0:1], v13, s7, 0
	v_add_co_u32_e32 v2, vcc, v14, v2
	v_addc_co_u32_e32 v2, vcc, v15, v3, vcc
	v_addc_co_u32_e32 v3, vcc, 0, v9, vcc
	v_add_co_u32_e32 v8, vcc, v2, v8
	v_addc_co_u32_e32 v9, vcc, 0, v3, vcc
	v_mul_lo_u32 v14, s13, v8
	v_mul_lo_u32 v15, s12, v9
	v_mad_u64_u32 v[2:3], s[0:1], s12, v8, 0
	v_add3_u32 v3, v3, v15, v14
	v_sub_u32_e32 v14, v13, v3
	v_mov_b32_e32 v15, s13
	v_sub_co_u32_e32 v2, vcc, v12, v2
	v_subb_co_u32_e64 v12, s[0:1], v14, v15, vcc
	v_subrev_co_u32_e64 v14, s[0:1], s12, v2
	v_subbrev_co_u32_e64 v12, s[0:1], 0, v12, s[0:1]
	v_cmp_le_u32_e64 s[0:1], s13, v12
	v_cndmask_b32_e64 v15, 0, -1, s[0:1]
	v_cmp_le_u32_e64 s[0:1], s12, v14
	v_cndmask_b32_e64 v14, 0, -1, s[0:1]
	v_cmp_eq_u32_e64 s[0:1], s13, v12
	v_cndmask_b32_e64 v12, v15, v14, s[0:1]
	v_add_co_u32_e64 v14, s[0:1], 2, v8
	v_subb_co_u32_e32 v3, vcc, v13, v3, vcc
	v_addc_co_u32_e64 v15, s[0:1], 0, v9, s[0:1]
	v_cmp_le_u32_e32 vcc, s13, v3
	v_add_co_u32_e64 v16, s[0:1], 1, v8
	v_cndmask_b32_e64 v13, 0, -1, vcc
	v_cmp_le_u32_e32 vcc, s12, v2
	v_addc_co_u32_e64 v17, s[0:1], 0, v9, s[0:1]
	v_cndmask_b32_e64 v2, 0, -1, vcc
	v_cmp_eq_u32_e32 vcc, s13, v3
	v_cmp_ne_u32_e64 s[0:1], 0, v12
	v_cndmask_b32_e32 v2, v13, v2, vcc
	v_cndmask_b32_e64 v12, v17, v15, s[0:1]
	v_cmp_ne_u32_e32 vcc, 0, v2
	v_cndmask_b32_e64 v3, v16, v14, s[0:1]
	v_cndmask_b32_e32 v2, v9, v12, vcc
	v_cndmask_b32_e32 v3, v8, v3, vcc
	v_xor_b32_e32 v8, s6, v11
	v_xor_b32_e32 v9, v2, v8
	v_xor_b32_e32 v2, v3, v8
	v_sub_co_u32_e32 v2, vcc, v2, v8
	v_subb_co_u32_e32 v3, vcc, v9, v8, vcc
.LBB21_7:
	s_andn2_saveexec_b64 s[0:1], s[2:3]
	s_cbranch_execz .LBB21_9
; %bb.8:
	v_cvt_f32_u32_e32 v2, s16
	s_sub_i32 s2, 0, s16
	v_rcp_iflag_f32_e32 v2, v2
	v_mul_f32_e32 v2, 0x4f7ffffe, v2
	v_cvt_u32_f32_e32 v2, v2
	v_mul_lo_u32 v3, s2, v2
	v_mul_hi_u32 v3, v2, v3
	v_add_u32_e32 v2, v2, v3
	v_mul_hi_u32 v2, v6, v2
	v_mul_lo_u32 v3, v2, s16
	v_add_u32_e32 v8, 1, v2
	v_sub_u32_e32 v3, v6, v3
	v_subrev_u32_e32 v9, s16, v3
	v_cmp_le_u32_e32 vcc, s16, v3
	v_cndmask_b32_e32 v3, v3, v9, vcc
	v_cndmask_b32_e32 v2, v2, v8, vcc
	v_add_u32_e32 v8, 1, v2
	v_cmp_le_u32_e32 vcc, s16, v3
	v_cndmask_b32_e32 v2, v2, v8, vcc
	v_mov_b32_e32 v3, 0
.LBB21_9:
	s_or_b64 exec, exec, s[0:1]
	v_mul_lo_u32 v11, s17, v2
	v_mul_lo_u32 v12, s16, v3
	v_mad_u64_u32 v[8:9], s[0:1], s16, v2, 0
	v_add3_u32 v9, v9, v12, v11
	v_sub_co_u32_e32 v12, vcc, v6, v8
	v_subb_co_u32_e32 v13, vcc, v7, v9, vcc
	v_or_b32_e32 v7, s15, v13
	v_mov_b32_e32 v6, 0
	v_cmp_ne_u64_e32 vcc, 0, v[6:7]
                                        ; implicit-def: $vgpr6_vgpr7
	s_and_saveexec_b64 s[0:1], vcc
	s_xor_b64 s[2:3], exec, s[0:1]
	s_cbranch_execz .LBB21_11
; %bb.10:
	s_ashr_i32 s6, s15, 31
	s_add_u32 s0, s14, s6
	s_mov_b32 s7, s6
	s_addc_u32 s1, s15, s6
	s_xor_b64 s[12:13], s[0:1], s[6:7]
	v_cvt_f32_u32_e32 v6, s12
	v_cvt_f32_u32_e32 v7, s13
	s_sub_u32 s7, 0, s12
	s_subb_u32 s16, 0, s13
	v_ashrrev_i32_e32 v11, 31, v13
	v_madmk_f32 v6, v7, 0x4f800000, v6
	v_rcp_f32_e32 v6, v6
	v_mul_f32_e32 v6, 0x5f7ffffc, v6
	v_mul_f32_e32 v7, 0x2f800000, v6
	v_trunc_f32_e32 v7, v7
	v_madmk_f32 v6, v7, 0xcf800000, v6
	v_cvt_u32_f32_e32 v7, v7
	v_cvt_u32_f32_e32 v6, v6
	v_readfirstlane_b32 s17, v7
	v_readfirstlane_b32 s0, v6
	s_mul_i32 s1, s7, s17
	s_mul_hi_u32 s19, s7, s0
	s_mul_i32 s18, s16, s0
	s_add_i32 s1, s19, s1
	s_add_i32 s1, s1, s18
	s_mul_i32 s24, s7, s0
	s_mul_i32 s19, s0, s1
	s_mul_hi_u32 s25, s0, s24
	s_mul_hi_u32 s18, s0, s1
	s_add_u32 s19, s25, s19
	s_addc_u32 s18, 0, s18
	s_mul_hi_u32 s26, s17, s24
	s_mul_i32 s24, s17, s24
	s_add_u32 s19, s19, s24
	s_mul_hi_u32 s25, s17, s1
	s_addc_u32 s18, s18, s26
	s_addc_u32 s19, s25, 0
	s_mul_i32 s1, s17, s1
	s_add_u32 s1, s18, s1
	s_addc_u32 s18, 0, s19
	s_add_u32 s19, s0, s1
	s_cselect_b64 s[0:1], -1, 0
	s_cmp_lg_u64 s[0:1], 0
	s_addc_u32 s17, s17, s18
	s_mul_i32 s0, s7, s17
	s_mul_hi_u32 s1, s7, s19
	s_add_i32 s0, s1, s0
	s_mul_i32 s16, s16, s19
	s_add_i32 s0, s0, s16
	s_mul_i32 s7, s7, s19
	s_mul_hi_u32 s16, s17, s7
	s_mul_i32 s18, s17, s7
	s_mul_i32 s25, s19, s0
	s_mul_hi_u32 s7, s19, s7
	s_mul_hi_u32 s24, s19, s0
	s_add_u32 s7, s7, s25
	s_addc_u32 s24, 0, s24
	s_add_u32 s7, s7, s18
	s_mul_hi_u32 s1, s17, s0
	s_addc_u32 s7, s24, s16
	s_addc_u32 s1, s1, 0
	s_mul_i32 s0, s17, s0
	s_add_u32 s0, s7, s0
	s_addc_u32 s7, 0, s1
	s_add_u32 s16, s19, s0
	s_cselect_b64 s[0:1], -1, 0
	s_cmp_lg_u64 s[0:1], 0
	v_add_co_u32_e32 v6, vcc, v12, v11
	s_addc_u32 s7, s17, s7
	v_xor_b32_e32 v14, v6, v11
	v_mad_u64_u32 v[6:7], s[0:1], v14, s7, 0
	v_mul_hi_u32 v9, v14, s16
	v_addc_co_u32_e32 v8, vcc, v13, v11, vcc
	v_xor_b32_e32 v15, v8, v11
	v_add_co_u32_e32 v16, vcc, v9, v6
	v_addc_co_u32_e32 v17, vcc, 0, v7, vcc
	v_mad_u64_u32 v[6:7], s[0:1], v15, s16, 0
	v_mad_u64_u32 v[8:9], s[0:1], v15, s7, 0
	v_add_co_u32_e32 v6, vcc, v16, v6
	v_addc_co_u32_e32 v6, vcc, v17, v7, vcc
	v_addc_co_u32_e32 v7, vcc, 0, v9, vcc
	v_add_co_u32_e32 v8, vcc, v6, v8
	v_addc_co_u32_e32 v9, vcc, 0, v7, vcc
	v_mul_lo_u32 v16, s13, v8
	v_mul_lo_u32 v17, s12, v9
	v_mad_u64_u32 v[6:7], s[0:1], s12, v8, 0
	v_add3_u32 v7, v7, v17, v16
	v_sub_u32_e32 v16, v15, v7
	v_mov_b32_e32 v17, s13
	v_sub_co_u32_e32 v6, vcc, v14, v6
	v_subb_co_u32_e64 v14, s[0:1], v16, v17, vcc
	v_subrev_co_u32_e64 v16, s[0:1], s12, v6
	v_subbrev_co_u32_e64 v14, s[0:1], 0, v14, s[0:1]
	v_cmp_le_u32_e64 s[0:1], s13, v14
	v_cndmask_b32_e64 v17, 0, -1, s[0:1]
	v_cmp_le_u32_e64 s[0:1], s12, v16
	v_cndmask_b32_e64 v16, 0, -1, s[0:1]
	v_cmp_eq_u32_e64 s[0:1], s13, v14
	v_cndmask_b32_e64 v14, v17, v16, s[0:1]
	v_add_co_u32_e64 v16, s[0:1], 2, v8
	v_subb_co_u32_e32 v7, vcc, v15, v7, vcc
	v_addc_co_u32_e64 v17, s[0:1], 0, v9, s[0:1]
	v_cmp_le_u32_e32 vcc, s13, v7
	v_add_co_u32_e64 v18, s[0:1], 1, v8
	v_cndmask_b32_e64 v15, 0, -1, vcc
	v_cmp_le_u32_e32 vcc, s12, v6
	v_addc_co_u32_e64 v19, s[0:1], 0, v9, s[0:1]
	v_cndmask_b32_e64 v6, 0, -1, vcc
	v_cmp_eq_u32_e32 vcc, s13, v7
	v_cmp_ne_u32_e64 s[0:1], 0, v14
	v_cndmask_b32_e32 v6, v15, v6, vcc
	v_cndmask_b32_e64 v14, v19, v17, s[0:1]
	v_cmp_ne_u32_e32 vcc, 0, v6
	v_cndmask_b32_e64 v7, v18, v16, s[0:1]
	v_cndmask_b32_e32 v6, v9, v14, vcc
	v_cndmask_b32_e32 v7, v8, v7, vcc
	v_xor_b32_e32 v8, s6, v11
	v_xor_b32_e32 v9, v6, v8
	;; [unrolled: 1-line block ×3, first 2 shown]
	v_sub_co_u32_e32 v6, vcc, v6, v8
	v_subb_co_u32_e32 v7, vcc, v9, v8, vcc
.LBB21_11:
	s_andn2_saveexec_b64 s[0:1], s[2:3]
	s_cbranch_execz .LBB21_13
; %bb.12:
	v_cvt_f32_u32_e32 v6, s14
	s_sub_i32 s2, 0, s14
	v_rcp_iflag_f32_e32 v6, v6
	v_mul_f32_e32 v6, 0x4f7ffffe, v6
	v_cvt_u32_f32_e32 v6, v6
	v_mul_lo_u32 v7, s2, v6
	v_mul_hi_u32 v7, v6, v7
	v_add_u32_e32 v6, v6, v7
	v_mul_hi_u32 v6, v12, v6
	v_mul_lo_u32 v7, v6, s14
	v_add_u32_e32 v8, 1, v6
	v_sub_u32_e32 v7, v12, v7
	v_subrev_u32_e32 v9, s14, v7
	v_cmp_le_u32_e32 vcc, s14, v7
	v_cndmask_b32_e32 v7, v7, v9, vcc
	v_cndmask_b32_e32 v6, v6, v8, vcc
	v_add_u32_e32 v8, 1, v6
	v_cmp_le_u32_e32 vcc, s14, v7
	v_cndmask_b32_e32 v6, v6, v8, vcc
	v_mov_b32_e32 v7, 0
.LBB21_13:
	s_or_b64 exec, exec, s[0:1]
	s_load_dwordx16 s[36:51], s[4:5], 0x40
	v_mov_b32_e32 v8, 0
	s_waitcnt lgkmcnt(0)
	s_mul_i32 s0, s42, s41
	s_mul_hi_u32 s1, s42, s40
	s_mul_i32 s2, s43, s40
	s_mul_i32 s16, s42, s40
	s_add_i32 s17, s1, s0
	s_mul_i32 s0, s16, s45
	s_add_i32 s17, s17, s2
	s_mul_hi_u32 s1, s16, s44
	s_add_i32 s0, s1, s0
	s_mul_i32 s1, s17, s44
	s_add_i32 s18, s0, s1
	v_or_b32_e32 v9, s18, v5
	v_cmp_ne_u64_e32 vcc, 0, v[8:9]
	s_mul_i32 s19, s16, s44
                                        ; implicit-def: $vgpr8_vgpr9
	s_and_saveexec_b64 s[0:1], vcc
	s_xor_b64 s[2:3], exec, s[0:1]
	s_cbranch_execz .LBB21_15
; %bb.14:
	s_ashr_i32 s6, s18, 31
	s_add_u32 s0, s19, s6
	s_mov_b32 s7, s6
	s_addc_u32 s1, s18, s6
	s_xor_b64 s[12:13], s[0:1], s[6:7]
	v_cvt_f32_u32_e32 v8, s12
	v_cvt_f32_u32_e32 v9, s13
	s_sub_u32 s7, 0, s12
	s_subb_u32 s24, 0, s13
	v_madmk_f32 v8, v9, 0x4f800000, v8
	v_rcp_f32_e32 v8, v8
	v_mul_f32_e32 v8, 0x5f7ffffc, v8
	v_mul_f32_e32 v9, 0x2f800000, v8
	v_trunc_f32_e32 v9, v9
	v_madmk_f32 v8, v9, 0xcf800000, v8
	v_cvt_u32_f32_e32 v9, v9
	v_cvt_u32_f32_e32 v8, v8
	v_readfirstlane_b32 s25, v9
	v_readfirstlane_b32 s0, v8
	s_mul_i32 s1, s7, s25
	s_mul_hi_u32 s27, s7, s0
	s_mul_i32 s26, s24, s0
	s_add_i32 s1, s27, s1
	s_add_i32 s1, s1, s26
	s_mul_i32 s28, s7, s0
	s_mul_i32 s27, s0, s1
	s_mul_hi_u32 s29, s0, s28
	s_mul_hi_u32 s26, s0, s1
	s_add_u32 s27, s29, s27
	s_addc_u32 s26, 0, s26
	s_mul_hi_u32 s30, s25, s28
	s_mul_i32 s28, s25, s28
	s_add_u32 s27, s27, s28
	s_mul_hi_u32 s29, s25, s1
	s_addc_u32 s26, s26, s30
	s_addc_u32 s27, s29, 0
	s_mul_i32 s1, s25, s1
	s_add_u32 s1, s26, s1
	s_addc_u32 s26, 0, s27
	s_add_u32 s27, s0, s1
	s_cselect_b64 s[0:1], -1, 0
	s_cmp_lg_u64 s[0:1], 0
	s_addc_u32 s25, s25, s26
	s_mul_i32 s0, s7, s25
	s_mul_hi_u32 s1, s7, s27
	s_add_i32 s0, s1, s0
	s_mul_i32 s24, s24, s27
	s_add_i32 s0, s0, s24
	s_mul_i32 s7, s7, s27
	s_mul_hi_u32 s24, s25, s7
	s_mul_i32 s26, s25, s7
	s_mul_i32 s29, s27, s0
	s_mul_hi_u32 s7, s27, s7
	s_mul_hi_u32 s28, s27, s0
	s_add_u32 s7, s7, s29
	s_addc_u32 s28, 0, s28
	s_add_u32 s7, s7, s26
	s_mul_hi_u32 s1, s25, s0
	s_addc_u32 s7, s28, s24
	s_addc_u32 s1, s1, 0
	s_mul_i32 s0, s25, s0
	s_add_u32 s0, s7, s0
	s_addc_u32 s7, 0, s1
	s_add_u32 s24, s27, s0
	s_cselect_b64 s[0:1], -1, 0
	s_cmp_lg_u64 s[0:1], 0
	v_add_co_u32_e32 v8, vcc, v4, v10
	s_addc_u32 s7, s25, s7
	v_xor_b32_e32 v16, v8, v10
	v_mad_u64_u32 v[8:9], s[0:1], v16, s7, 0
	v_mul_hi_u32 v14, v16, s24
	v_addc_co_u32_e32 v11, vcc, v5, v10, vcc
	v_xor_b32_e32 v11, v11, v10
	v_add_co_u32_e32 v17, vcc, v14, v8
	v_addc_co_u32_e32 v18, vcc, 0, v9, vcc
	v_mad_u64_u32 v[8:9], s[0:1], v11, s24, 0
	v_mad_u64_u32 v[14:15], s[0:1], v11, s7, 0
	v_add_co_u32_e32 v8, vcc, v17, v8
	v_addc_co_u32_e32 v8, vcc, v18, v9, vcc
	v_addc_co_u32_e32 v9, vcc, 0, v15, vcc
	v_add_co_u32_e32 v14, vcc, v8, v14
	v_addc_co_u32_e32 v15, vcc, 0, v9, vcc
	v_mul_lo_u32 v17, s13, v14
	v_mul_lo_u32 v18, s12, v15
	v_mad_u64_u32 v[8:9], s[0:1], s12, v14, 0
	v_xor_b32_e32 v10, s6, v10
	v_add3_u32 v9, v9, v18, v17
	v_sub_u32_e32 v17, v11, v9
	v_mov_b32_e32 v18, s13
	v_sub_co_u32_e32 v8, vcc, v16, v8
	v_subb_co_u32_e64 v16, s[0:1], v17, v18, vcc
	v_subrev_co_u32_e64 v17, s[0:1], s12, v8
	v_subbrev_co_u32_e64 v16, s[0:1], 0, v16, s[0:1]
	v_cmp_le_u32_e64 s[0:1], s13, v16
	v_cndmask_b32_e64 v18, 0, -1, s[0:1]
	v_cmp_le_u32_e64 s[0:1], s12, v17
	v_cndmask_b32_e64 v17, 0, -1, s[0:1]
	v_cmp_eq_u32_e64 s[0:1], s13, v16
	v_cndmask_b32_e64 v16, v18, v17, s[0:1]
	v_add_co_u32_e64 v17, s[0:1], 2, v14
	v_subb_co_u32_e32 v9, vcc, v11, v9, vcc
	v_addc_co_u32_e64 v18, s[0:1], 0, v15, s[0:1]
	v_cmp_le_u32_e32 vcc, s13, v9
	v_add_co_u32_e64 v19, s[0:1], 1, v14
	v_cndmask_b32_e64 v11, 0, -1, vcc
	v_cmp_le_u32_e32 vcc, s12, v8
	v_addc_co_u32_e64 v20, s[0:1], 0, v15, s[0:1]
	v_cndmask_b32_e64 v8, 0, -1, vcc
	v_cmp_eq_u32_e32 vcc, s13, v9
	v_cmp_ne_u32_e64 s[0:1], 0, v16
	v_cndmask_b32_e32 v8, v11, v8, vcc
	v_cndmask_b32_e64 v16, v20, v18, s[0:1]
	v_cmp_ne_u32_e32 vcc, 0, v8
	v_cndmask_b32_e64 v9, v19, v17, s[0:1]
	v_cndmask_b32_e32 v8, v15, v16, vcc
	v_cndmask_b32_e32 v9, v14, v9, vcc
	v_xor_b32_e32 v11, v8, v10
	v_xor_b32_e32 v8, v9, v10
	v_sub_co_u32_e32 v8, vcc, v8, v10
	v_subb_co_u32_e32 v9, vcc, v11, v10, vcc
.LBB21_15:
	s_andn2_saveexec_b64 s[0:1], s[2:3]
	s_cbranch_execz .LBB21_17
; %bb.16:
	v_cvt_f32_u32_e32 v8, s19
	s_sub_i32 s2, 0, s19
	v_rcp_iflag_f32_e32 v8, v8
	v_mul_f32_e32 v8, 0x4f7ffffe, v8
	v_cvt_u32_f32_e32 v8, v8
	v_mul_lo_u32 v9, s2, v8
	v_mul_hi_u32 v9, v8, v9
	v_add_u32_e32 v8, v8, v9
	v_mul_hi_u32 v8, v4, v8
	v_mul_lo_u32 v9, v8, s19
	v_add_u32_e32 v10, 1, v8
	v_sub_u32_e32 v9, v4, v9
	v_subrev_u32_e32 v11, s19, v9
	v_cmp_le_u32_e32 vcc, s19, v9
	v_cndmask_b32_e32 v9, v9, v11, vcc
	v_cndmask_b32_e32 v8, v8, v10, vcc
	v_add_u32_e32 v10, 1, v8
	v_cmp_le_u32_e32 vcc, s19, v9
	v_cndmask_b32_e32 v8, v8, v10, vcc
	v_mov_b32_e32 v9, 0
.LBB21_17:
	s_or_b64 exec, exec, s[0:1]
	v_mul_lo_u32 v14, s18, v8
	v_mul_lo_u32 v15, s19, v9
	v_mad_u64_u32 v[10:11], s[0:1], s19, v8, 0
	v_add3_u32 v11, v11, v15, v14
	v_sub_co_u32_e32 v10, vcc, v4, v10
	v_subb_co_u32_e32 v11, vcc, v5, v11, vcc
	v_or_b32_e32 v5, s17, v11
	v_mov_b32_e32 v4, 0
	v_cmp_ne_u64_e32 vcc, 0, v[4:5]
                                        ; implicit-def: $vgpr4_vgpr5
	s_and_saveexec_b64 s[0:1], vcc
	s_xor_b64 s[2:3], exec, s[0:1]
	s_cbranch_execz .LBB21_19
; %bb.18:
	s_ashr_i32 s6, s17, 31
	s_add_u32 s0, s16, s6
	s_mov_b32 s7, s6
	s_addc_u32 s1, s17, s6
	s_xor_b64 s[12:13], s[0:1], s[6:7]
	v_cvt_f32_u32_e32 v4, s12
	v_cvt_f32_u32_e32 v5, s13
	s_sub_u32 s7, 0, s12
	s_subb_u32 s18, 0, s13
	v_ashrrev_i32_e32 v16, 31, v11
	v_madmk_f32 v4, v5, 0x4f800000, v4
	v_rcp_f32_e32 v4, v4
	v_mul_f32_e32 v4, 0x5f7ffffc, v4
	v_mul_f32_e32 v5, 0x2f800000, v4
	v_trunc_f32_e32 v5, v5
	v_madmk_f32 v4, v5, 0xcf800000, v4
	v_cvt_u32_f32_e32 v5, v5
	v_cvt_u32_f32_e32 v4, v4
	v_readfirstlane_b32 s19, v5
	v_readfirstlane_b32 s0, v4
	s_mul_i32 s1, s7, s19
	s_mul_hi_u32 s25, s7, s0
	s_mul_i32 s24, s18, s0
	s_add_i32 s1, s25, s1
	s_add_i32 s1, s1, s24
	s_mul_i32 s26, s7, s0
	s_mul_i32 s25, s0, s1
	s_mul_hi_u32 s27, s0, s26
	s_mul_hi_u32 s24, s0, s1
	s_add_u32 s25, s27, s25
	s_addc_u32 s24, 0, s24
	s_mul_hi_u32 s28, s19, s26
	s_mul_i32 s26, s19, s26
	s_add_u32 s25, s25, s26
	s_mul_hi_u32 s27, s19, s1
	s_addc_u32 s24, s24, s28
	s_addc_u32 s25, s27, 0
	s_mul_i32 s1, s19, s1
	s_add_u32 s1, s24, s1
	s_addc_u32 s24, 0, s25
	s_add_u32 s25, s0, s1
	s_cselect_b64 s[0:1], -1, 0
	s_cmp_lg_u64 s[0:1], 0
	s_addc_u32 s19, s19, s24
	s_mul_i32 s0, s7, s19
	s_mul_hi_u32 s1, s7, s25
	s_add_i32 s0, s1, s0
	s_mul_i32 s18, s18, s25
	s_add_i32 s0, s0, s18
	s_mul_i32 s7, s7, s25
	s_mul_hi_u32 s18, s19, s7
	s_mul_i32 s24, s19, s7
	s_mul_i32 s27, s25, s0
	s_mul_hi_u32 s7, s25, s7
	s_mul_hi_u32 s26, s25, s0
	s_add_u32 s7, s7, s27
	s_addc_u32 s26, 0, s26
	s_add_u32 s7, s7, s24
	s_mul_hi_u32 s1, s19, s0
	s_addc_u32 s7, s26, s18
	s_addc_u32 s1, s1, 0
	s_mul_i32 s0, s19, s0
	s_add_u32 s0, s7, s0
	s_addc_u32 s7, 0, s1
	s_add_u32 s18, s25, s0
	s_cselect_b64 s[0:1], -1, 0
	s_cmp_lg_u64 s[0:1], 0
	v_add_co_u32_e32 v4, vcc, v10, v16
	s_addc_u32 s7, s19, s7
	v_xor_b32_e32 v17, v4, v16
	v_mad_u64_u32 v[4:5], s[0:1], v17, s7, 0
	v_mul_hi_u32 v15, v17, s18
	v_addc_co_u32_e32 v14, vcc, v11, v16, vcc
	v_xor_b32_e32 v18, v14, v16
	v_add_co_u32_e32 v19, vcc, v15, v4
	v_addc_co_u32_e32 v20, vcc, 0, v5, vcc
	v_mad_u64_u32 v[4:5], s[0:1], v18, s18, 0
	v_mad_u64_u32 v[14:15], s[0:1], v18, s7, 0
	v_add_co_u32_e32 v4, vcc, v19, v4
	v_addc_co_u32_e32 v4, vcc, v20, v5, vcc
	v_addc_co_u32_e32 v5, vcc, 0, v15, vcc
	v_add_co_u32_e32 v14, vcc, v4, v14
	v_addc_co_u32_e32 v15, vcc, 0, v5, vcc
	v_mul_lo_u32 v19, s13, v14
	v_mul_lo_u32 v20, s12, v15
	v_mad_u64_u32 v[4:5], s[0:1], s12, v14, 0
	v_add3_u32 v5, v5, v20, v19
	v_sub_u32_e32 v19, v18, v5
	v_mov_b32_e32 v20, s13
	v_sub_co_u32_e32 v4, vcc, v17, v4
	v_subb_co_u32_e64 v17, s[0:1], v19, v20, vcc
	v_subrev_co_u32_e64 v19, s[0:1], s12, v4
	v_subbrev_co_u32_e64 v17, s[0:1], 0, v17, s[0:1]
	v_cmp_le_u32_e64 s[0:1], s13, v17
	v_cndmask_b32_e64 v20, 0, -1, s[0:1]
	v_cmp_le_u32_e64 s[0:1], s12, v19
	v_cndmask_b32_e64 v19, 0, -1, s[0:1]
	v_cmp_eq_u32_e64 s[0:1], s13, v17
	v_cndmask_b32_e64 v17, v20, v19, s[0:1]
	v_add_co_u32_e64 v19, s[0:1], 2, v14
	v_subb_co_u32_e32 v5, vcc, v18, v5, vcc
	v_addc_co_u32_e64 v20, s[0:1], 0, v15, s[0:1]
	v_cmp_le_u32_e32 vcc, s13, v5
	v_add_co_u32_e64 v21, s[0:1], 1, v14
	v_cndmask_b32_e64 v18, 0, -1, vcc
	v_cmp_le_u32_e32 vcc, s12, v4
	v_addc_co_u32_e64 v22, s[0:1], 0, v15, s[0:1]
	v_cndmask_b32_e64 v4, 0, -1, vcc
	v_cmp_eq_u32_e32 vcc, s13, v5
	v_cmp_ne_u32_e64 s[0:1], 0, v17
	v_cndmask_b32_e32 v4, v18, v4, vcc
	v_cndmask_b32_e64 v17, v22, v20, s[0:1]
	v_cmp_ne_u32_e32 vcc, 0, v4
	v_cndmask_b32_e64 v5, v21, v19, s[0:1]
	v_cndmask_b32_e32 v4, v15, v17, vcc
	v_cndmask_b32_e32 v5, v14, v5, vcc
	v_xor_b32_e32 v14, s6, v16
	v_xor_b32_e32 v15, v4, v14
	;; [unrolled: 1-line block ×3, first 2 shown]
	v_sub_co_u32_e32 v4, vcc, v4, v14
	v_subb_co_u32_e32 v5, vcc, v15, v14, vcc
.LBB21_19:
	s_andn2_saveexec_b64 s[0:1], s[2:3]
	s_cbranch_execz .LBB21_21
; %bb.20:
	v_cvt_f32_u32_e32 v4, s16
	s_sub_i32 s2, 0, s16
	v_rcp_iflag_f32_e32 v4, v4
	v_mul_f32_e32 v4, 0x4f7ffffe, v4
	v_cvt_u32_f32_e32 v4, v4
	v_mul_lo_u32 v5, s2, v4
	v_mul_hi_u32 v5, v4, v5
	v_add_u32_e32 v4, v4, v5
	v_mul_hi_u32 v4, v10, v4
	v_mul_lo_u32 v5, v4, s16
	v_add_u32_e32 v14, 1, v4
	v_sub_u32_e32 v5, v10, v5
	v_subrev_u32_e32 v15, s16, v5
	v_cmp_le_u32_e32 vcc, s16, v5
	v_cndmask_b32_e32 v5, v5, v15, vcc
	v_cndmask_b32_e32 v4, v4, v14, vcc
	v_add_u32_e32 v14, 1, v4
	v_cmp_le_u32_e32 vcc, s16, v5
	v_cndmask_b32_e32 v4, v4, v14, vcc
	v_mov_b32_e32 v5, 0
.LBB21_21:
	s_or_b64 exec, exec, s[0:1]
	v_mul_lo_u32 v16, s17, v4
	v_mul_lo_u32 v17, s16, v5
	v_mad_u64_u32 v[14:15], s[0:1], s16, v4, 0
	v_add3_u32 v15, v15, v17, v16
	v_sub_co_u32_e32 v14, vcc, v10, v14
	v_subb_co_u32_e32 v15, vcc, v11, v15, vcc
	v_or_b32_e32 v11, s41, v15
	v_mov_b32_e32 v10, 0
	v_cmp_ne_u64_e32 vcc, 0, v[10:11]
                                        ; implicit-def: $vgpr10_vgpr11
	s_and_saveexec_b64 s[0:1], vcc
	s_xor_b64 s[2:3], exec, s[0:1]
	s_cbranch_execz .LBB21_23
; %bb.22:
	s_ashr_i32 s6, s41, 31
	s_add_u32 s0, s40, s6
	s_mov_b32 s7, s6
	s_addc_u32 s1, s41, s6
	s_xor_b64 s[12:13], s[0:1], s[6:7]
	v_cvt_f32_u32_e32 v10, s12
	v_cvt_f32_u32_e32 v11, s13
	s_sub_u32 s7, 0, s12
	s_subb_u32 s16, 0, s13
	v_ashrrev_i32_e32 v18, 31, v15
	v_madmk_f32 v10, v11, 0x4f800000, v10
	v_rcp_f32_e32 v10, v10
	v_mul_f32_e32 v10, 0x5f7ffffc, v10
	v_mul_f32_e32 v11, 0x2f800000, v10
	v_trunc_f32_e32 v11, v11
	v_madmk_f32 v10, v11, 0xcf800000, v10
	v_cvt_u32_f32_e32 v11, v11
	v_cvt_u32_f32_e32 v10, v10
	v_readfirstlane_b32 s17, v11
	v_readfirstlane_b32 s0, v10
	s_mul_i32 s1, s7, s17
	s_mul_hi_u32 s19, s7, s0
	s_mul_i32 s18, s16, s0
	s_add_i32 s1, s19, s1
	s_add_i32 s1, s1, s18
	s_mul_i32 s24, s7, s0
	s_mul_i32 s19, s0, s1
	s_mul_hi_u32 s25, s0, s24
	s_mul_hi_u32 s18, s0, s1
	s_add_u32 s19, s25, s19
	s_addc_u32 s18, 0, s18
	s_mul_hi_u32 s26, s17, s24
	s_mul_i32 s24, s17, s24
	s_add_u32 s19, s19, s24
	s_mul_hi_u32 s25, s17, s1
	s_addc_u32 s18, s18, s26
	s_addc_u32 s19, s25, 0
	s_mul_i32 s1, s17, s1
	s_add_u32 s1, s18, s1
	s_addc_u32 s18, 0, s19
	s_add_u32 s19, s0, s1
	s_cselect_b64 s[0:1], -1, 0
	s_cmp_lg_u64 s[0:1], 0
	s_addc_u32 s17, s17, s18
	s_mul_i32 s0, s7, s17
	s_mul_hi_u32 s1, s7, s19
	s_add_i32 s0, s1, s0
	s_mul_i32 s16, s16, s19
	s_add_i32 s0, s0, s16
	s_mul_i32 s7, s7, s19
	s_mul_hi_u32 s16, s17, s7
	s_mul_i32 s18, s17, s7
	s_mul_i32 s25, s19, s0
	s_mul_hi_u32 s7, s19, s7
	s_mul_hi_u32 s24, s19, s0
	s_add_u32 s7, s7, s25
	s_addc_u32 s24, 0, s24
	s_add_u32 s7, s7, s18
	s_mul_hi_u32 s1, s17, s0
	s_addc_u32 s7, s24, s16
	s_addc_u32 s1, s1, 0
	s_mul_i32 s0, s17, s0
	s_add_u32 s0, s7, s0
	s_addc_u32 s7, 0, s1
	s_add_u32 s16, s19, s0
	s_cselect_b64 s[0:1], -1, 0
	s_cmp_lg_u64 s[0:1], 0
	v_add_co_u32_e32 v10, vcc, v14, v18
	s_addc_u32 s7, s17, s7
	v_xor_b32_e32 v19, v10, v18
	v_mad_u64_u32 v[10:11], s[0:1], v19, s7, 0
	v_mul_hi_u32 v17, v19, s16
	v_addc_co_u32_e32 v16, vcc, v15, v18, vcc
	v_xor_b32_e32 v20, v16, v18
	v_add_co_u32_e32 v21, vcc, v17, v10
	v_addc_co_u32_e32 v22, vcc, 0, v11, vcc
	v_mad_u64_u32 v[10:11], s[0:1], v20, s16, 0
	v_mad_u64_u32 v[16:17], s[0:1], v20, s7, 0
	v_add_co_u32_e32 v10, vcc, v21, v10
	v_addc_co_u32_e32 v10, vcc, v22, v11, vcc
	v_addc_co_u32_e32 v11, vcc, 0, v17, vcc
	v_add_co_u32_e32 v16, vcc, v10, v16
	v_addc_co_u32_e32 v17, vcc, 0, v11, vcc
	v_mul_lo_u32 v21, s13, v16
	v_mul_lo_u32 v22, s12, v17
	v_mad_u64_u32 v[10:11], s[0:1], s12, v16, 0
	v_add3_u32 v11, v11, v22, v21
	v_sub_u32_e32 v21, v20, v11
	v_mov_b32_e32 v22, s13
	v_sub_co_u32_e32 v10, vcc, v19, v10
	v_subb_co_u32_e64 v19, s[0:1], v21, v22, vcc
	v_subrev_co_u32_e64 v21, s[0:1], s12, v10
	v_subbrev_co_u32_e64 v19, s[0:1], 0, v19, s[0:1]
	v_cmp_le_u32_e64 s[0:1], s13, v19
	v_cndmask_b32_e64 v22, 0, -1, s[0:1]
	v_cmp_le_u32_e64 s[0:1], s12, v21
	v_cndmask_b32_e64 v21, 0, -1, s[0:1]
	v_cmp_eq_u32_e64 s[0:1], s13, v19
	v_cndmask_b32_e64 v19, v22, v21, s[0:1]
	v_add_co_u32_e64 v21, s[0:1], 2, v16
	v_subb_co_u32_e32 v11, vcc, v20, v11, vcc
	v_addc_co_u32_e64 v22, s[0:1], 0, v17, s[0:1]
	v_cmp_le_u32_e32 vcc, s13, v11
	v_add_co_u32_e64 v23, s[0:1], 1, v16
	v_cndmask_b32_e64 v20, 0, -1, vcc
	v_cmp_le_u32_e32 vcc, s12, v10
	v_addc_co_u32_e64 v24, s[0:1], 0, v17, s[0:1]
	v_cndmask_b32_e64 v10, 0, -1, vcc
	v_cmp_eq_u32_e32 vcc, s13, v11
	v_cmp_ne_u32_e64 s[0:1], 0, v19
	v_cndmask_b32_e32 v10, v20, v10, vcc
	v_cndmask_b32_e64 v19, v24, v22, s[0:1]
	v_cmp_ne_u32_e32 vcc, 0, v10
	v_cndmask_b32_e64 v11, v23, v21, s[0:1]
	v_cndmask_b32_e32 v10, v17, v19, vcc
	v_cndmask_b32_e32 v11, v16, v11, vcc
	v_xor_b32_e32 v16, s6, v18
	v_xor_b32_e32 v17, v10, v16
	v_xor_b32_e32 v10, v11, v16
	v_sub_co_u32_e32 v10, vcc, v10, v16
	v_subb_co_u32_e32 v11, vcc, v17, v16, vcc
.LBB21_23:
	s_andn2_saveexec_b64 s[0:1], s[2:3]
	s_cbranch_execz .LBB21_25
; %bb.24:
	v_cvt_f32_u32_e32 v10, s40
	s_sub_i32 s2, 0, s40
	v_rcp_iflag_f32_e32 v10, v10
	v_mul_f32_e32 v10, 0x4f7ffffe, v10
	v_cvt_u32_f32_e32 v10, v10
	v_mul_lo_u32 v11, s2, v10
	v_mul_hi_u32 v11, v10, v11
	v_add_u32_e32 v10, v10, v11
	v_mul_hi_u32 v10, v14, v10
	v_mul_lo_u32 v11, v10, s40
	v_add_u32_e32 v16, 1, v10
	v_sub_u32_e32 v11, v14, v11
	v_subrev_u32_e32 v17, s40, v11
	v_cmp_le_u32_e32 vcc, s40, v11
	v_cndmask_b32_e32 v11, v11, v17, vcc
	v_cndmask_b32_e32 v10, v10, v16, vcc
	v_add_u32_e32 v16, 1, v10
	v_cmp_le_u32_e32 vcc, s40, v11
	v_cndmask_b32_e32 v10, v10, v16, vcc
	v_mov_b32_e32 v11, 0
.LBB21_25:
	s_or_b64 exec, exec, s[0:1]
	v_mul_lo_u32 v18, v7, s14
	v_mul_lo_u32 v19, v6, s15
	v_mad_u64_u32 v[16:17], s[0:1], v6, s14, 0
	v_mul_lo_u32 v7, v7, s22
	v_mul_lo_u32 v3, v3, s36
	v_add3_u32 v17, v17, v19, v18
	v_sub_co_u32_e32 v16, vcc, v12, v16
	v_subb_co_u32_e32 v17, vcc, v13, v17, vcc
	v_mov_b32_e32 v12, s8
	v_mov_b32_e32 v13, s9
	v_mul_lo_u32 v18, v16, s21
	v_mul_lo_u32 v17, v17, s20
	v_mad_u64_u32 v[12:13], s[0:1], v16, s20, v[12:13]
	v_mul_lo_u32 v1, v1, s38
	v_mul_lo_u32 v5, v5, s50
	v_add3_u32 v13, v17, v13, v18
	v_mad_u64_u32 v[12:13], s[0:1], v6, s22, v[12:13]
	v_mul_lo_u32 v6, v6, s23
	v_add3_u32 v13, v7, v13, v6
	v_mad_u64_u32 v[6:7], s[0:1], v2, s36, v[12:13]
	v_mul_lo_u32 v2, v2, s37
	v_mul_lo_u32 v12, v10, s41
	v_add3_u32 v7, v3, v7, v2
	v_mad_u64_u32 v[2:3], s[0:1], v0, s38, v[6:7]
	v_mul_lo_u32 v0, v0, s39
	v_mul_lo_u32 v7, v11, s40
	v_add3_u32 v3, v1, v3, v0
	global_load_ushort v6, v[2:3], off
	v_mad_u64_u32 v[0:1], s[0:1], v10, s40, 0
	v_mov_b32_e32 v2, s10
	v_mov_b32_e32 v3, s11
	v_add3_u32 v1, v1, v12, v7
	v_sub_co_u32_e32 v0, vcc, v14, v0
	v_subb_co_u32_e32 v7, vcc, v15, v1, vcc
	v_mul_lo_u32 v12, v0, s47
	v_mad_u64_u32 v[0:1], s[0:1], v0, s46, v[2:3]
	v_mul_lo_u32 v2, v7, s46
	v_mul_lo_u32 v3, v10, s49
	;; [unrolled: 1-line block ×3, first 2 shown]
	v_add3_u32 v1, v2, v1, v12
	v_mad_u64_u32 v[0:1], s[0:1], v10, s48, v[0:1]
	s_load_dwordx2 s[0:1], s[4:5], 0x80
	v_mul_lo_u32 v2, v4, s51
	v_add3_u32 v1, v7, v1, v3
	v_mad_u64_u32 v[0:1], s[2:3], v4, s50, v[0:1]
	s_waitcnt lgkmcnt(0)
	v_mul_lo_u32 v3, v8, s1
	v_mul_lo_u32 v4, v9, s0
	v_add3_u32 v1, v5, v1, v2
	v_mad_u64_u32 v[0:1], s[0:1], v8, s0, v[0:1]
	s_movk_i32 s0, 0x7fff
	v_add3_u32 v1, v4, v1, v3
	s_waitcnt vmcnt(0)
	v_cvt_f32_f16_e32 v2, v6
	v_bfe_u32 v3, v2, 16, 1
	v_or_b32_e32 v4, 0x400000, v2
	v_add3_u32 v3, v3, v2, s0
	v_cmp_u_f32_e32 vcc, v2, v2
	v_cndmask_b32_e32 v2, v3, v4, vcc
	global_store_short_d16_hi v[0:1], v2, off
.LBB21_26:
	s_endpgm
	.section	.rodata,"a",@progbits
	.p2align	6, 0x0
	.amdhsa_kernel _ZL10cpy_scalarIXadL_ZL12cpy_1_scalarI6__half14__hip_bfloat16EvPKcPcEEEvS4_S5_lllllllllllllll
		.amdhsa_group_segment_fixed_size 0
		.amdhsa_private_segment_fixed_size 0
		.amdhsa_kernarg_size 392
		.amdhsa_user_sgpr_count 6
		.amdhsa_user_sgpr_private_segment_buffer 1
		.amdhsa_user_sgpr_dispatch_ptr 0
		.amdhsa_user_sgpr_queue_ptr 0
		.amdhsa_user_sgpr_kernarg_segment_ptr 1
		.amdhsa_user_sgpr_dispatch_id 0
		.amdhsa_user_sgpr_flat_scratch_init 0
		.amdhsa_user_sgpr_private_segment_size 0
		.amdhsa_uses_dynamic_stack 0
		.amdhsa_system_sgpr_private_segment_wavefront_offset 0
		.amdhsa_system_sgpr_workgroup_id_x 1
		.amdhsa_system_sgpr_workgroup_id_y 0
		.amdhsa_system_sgpr_workgroup_id_z 0
		.amdhsa_system_sgpr_workgroup_info 0
		.amdhsa_system_vgpr_workitem_id 0
		.amdhsa_next_free_vgpr 25
		.amdhsa_next_free_sgpr 52
		.amdhsa_reserve_vcc 1
		.amdhsa_reserve_flat_scratch 0
		.amdhsa_float_round_mode_32 0
		.amdhsa_float_round_mode_16_64 0
		.amdhsa_float_denorm_mode_32 3
		.amdhsa_float_denorm_mode_16_64 3
		.amdhsa_dx10_clamp 1
		.amdhsa_ieee_mode 1
		.amdhsa_fp16_overflow 0
		.amdhsa_exception_fp_ieee_invalid_op 0
		.amdhsa_exception_fp_denorm_src 0
		.amdhsa_exception_fp_ieee_div_zero 0
		.amdhsa_exception_fp_ieee_overflow 0
		.amdhsa_exception_fp_ieee_underflow 0
		.amdhsa_exception_fp_ieee_inexact 0
		.amdhsa_exception_int_div_zero 0
	.end_amdhsa_kernel
	.section	.text._ZL10cpy_scalarIXadL_ZL12cpy_1_scalarI6__half14__hip_bfloat16EvPKcPcEEEvS4_S5_lllllllllllllll,"axG",@progbits,_ZL10cpy_scalarIXadL_ZL12cpy_1_scalarI6__half14__hip_bfloat16EvPKcPcEEEvS4_S5_lllllllllllllll,comdat
.Lfunc_end21:
	.size	_ZL10cpy_scalarIXadL_ZL12cpy_1_scalarI6__half14__hip_bfloat16EvPKcPcEEEvS4_S5_lllllllllllllll, .Lfunc_end21-_ZL10cpy_scalarIXadL_ZL12cpy_1_scalarI6__half14__hip_bfloat16EvPKcPcEEEvS4_S5_lllllllllllllll
                                        ; -- End function
	.set _ZL10cpy_scalarIXadL_ZL12cpy_1_scalarI6__half14__hip_bfloat16EvPKcPcEEEvS4_S5_lllllllllllllll.num_vgpr, 25
	.set _ZL10cpy_scalarIXadL_ZL12cpy_1_scalarI6__half14__hip_bfloat16EvPKcPcEEEvS4_S5_lllllllllllllll.num_agpr, 0
	.set _ZL10cpy_scalarIXadL_ZL12cpy_1_scalarI6__half14__hip_bfloat16EvPKcPcEEEvS4_S5_lllllllllllllll.numbered_sgpr, 52
	.set _ZL10cpy_scalarIXadL_ZL12cpy_1_scalarI6__half14__hip_bfloat16EvPKcPcEEEvS4_S5_lllllllllllllll.num_named_barrier, 0
	.set _ZL10cpy_scalarIXadL_ZL12cpy_1_scalarI6__half14__hip_bfloat16EvPKcPcEEEvS4_S5_lllllllllllllll.private_seg_size, 0
	.set _ZL10cpy_scalarIXadL_ZL12cpy_1_scalarI6__half14__hip_bfloat16EvPKcPcEEEvS4_S5_lllllllllllllll.uses_vcc, 1
	.set _ZL10cpy_scalarIXadL_ZL12cpy_1_scalarI6__half14__hip_bfloat16EvPKcPcEEEvS4_S5_lllllllllllllll.uses_flat_scratch, 0
	.set _ZL10cpy_scalarIXadL_ZL12cpy_1_scalarI6__half14__hip_bfloat16EvPKcPcEEEvS4_S5_lllllllllllllll.has_dyn_sized_stack, 0
	.set _ZL10cpy_scalarIXadL_ZL12cpy_1_scalarI6__half14__hip_bfloat16EvPKcPcEEEvS4_S5_lllllllllllllll.has_recursion, 0
	.set _ZL10cpy_scalarIXadL_ZL12cpy_1_scalarI6__half14__hip_bfloat16EvPKcPcEEEvS4_S5_lllllllllllllll.has_indirect_call, 0
	.section	.AMDGPU.csdata,"",@progbits
; Kernel info:
; codeLenInByte = 5236
; TotalNumSgprs: 56
; NumVgprs: 25
; ScratchSize: 0
; MemoryBound: 0
; FloatMode: 240
; IeeeMode: 1
; LDSByteSize: 0 bytes/workgroup (compile time only)
; SGPRBlocks: 6
; VGPRBlocks: 6
; NumSGPRsForWavesPerEU: 56
; NumVGPRsForWavesPerEU: 25
; Occupancy: 9
; WaveLimiterHint : 0
; COMPUTE_PGM_RSRC2:SCRATCH_EN: 0
; COMPUTE_PGM_RSRC2:USER_SGPR: 6
; COMPUTE_PGM_RSRC2:TRAP_HANDLER: 0
; COMPUTE_PGM_RSRC2:TGID_X_EN: 1
; COMPUTE_PGM_RSRC2:TGID_Y_EN: 0
; COMPUTE_PGM_RSRC2:TGID_Z_EN: 0
; COMPUTE_PGM_RSRC2:TIDIG_COMP_CNT: 0
	.section	.text._ZL21cpy_scalar_contiguousI6__halffEvPKcPcl,"axG",@progbits,_ZL21cpy_scalar_contiguousI6__halffEvPKcPcl,comdat
	.globl	_ZL21cpy_scalar_contiguousI6__halffEvPKcPcl ; -- Begin function _ZL21cpy_scalar_contiguousI6__halffEvPKcPcl
	.p2align	8
	.type	_ZL21cpy_scalar_contiguousI6__halffEvPKcPcl,@function
_ZL21cpy_scalar_contiguousI6__halffEvPKcPcl: ; @_ZL21cpy_scalar_contiguousI6__halffEvPKcPcl
; %bb.0:
	s_load_dword s2, s[4:5], 0x24
	s_load_dwordx2 s[0:1], s[4:5], 0x10
	v_mov_b32_e32 v1, 0
	v_mov_b32_e32 v2, s6
	s_waitcnt lgkmcnt(0)
	s_and_b32 s2, s2, 0xffff
	v_mad_u64_u32 v[0:1], s[2:3], s2, v2, v[0:1]
	v_cmp_gt_i64_e32 vcc, s[0:1], v[0:1]
	s_and_saveexec_b64 s[0:1], vcc
	s_cbranch_execz .LBB22_2
; %bb.1:
	s_load_dwordx4 s[0:3], s[4:5], 0x0
	v_lshlrev_b64 v[2:3], 1, v[0:1]
	v_lshlrev_b64 v[0:1], 2, v[0:1]
	s_waitcnt lgkmcnt(0)
	v_mov_b32_e32 v4, s1
	v_add_co_u32_e32 v2, vcc, s0, v2
	v_addc_co_u32_e32 v3, vcc, v4, v3, vcc
	global_load_ushort v2, v[2:3], off
	v_mov_b32_e32 v3, s3
	v_add_co_u32_e32 v0, vcc, s2, v0
	v_addc_co_u32_e32 v1, vcc, v3, v1, vcc
	s_waitcnt vmcnt(0)
	v_cvt_f32_f16_e32 v2, v2
	global_store_dword v[0:1], v2, off
.LBB22_2:
	s_endpgm
	.section	.rodata,"a",@progbits
	.p2align	6, 0x0
	.amdhsa_kernel _ZL21cpy_scalar_contiguousI6__halffEvPKcPcl
		.amdhsa_group_segment_fixed_size 0
		.amdhsa_private_segment_fixed_size 0
		.amdhsa_kernarg_size 280
		.amdhsa_user_sgpr_count 6
		.amdhsa_user_sgpr_private_segment_buffer 1
		.amdhsa_user_sgpr_dispatch_ptr 0
		.amdhsa_user_sgpr_queue_ptr 0
		.amdhsa_user_sgpr_kernarg_segment_ptr 1
		.amdhsa_user_sgpr_dispatch_id 0
		.amdhsa_user_sgpr_flat_scratch_init 0
		.amdhsa_user_sgpr_private_segment_size 0
		.amdhsa_uses_dynamic_stack 0
		.amdhsa_system_sgpr_private_segment_wavefront_offset 0
		.amdhsa_system_sgpr_workgroup_id_x 1
		.amdhsa_system_sgpr_workgroup_id_y 0
		.amdhsa_system_sgpr_workgroup_id_z 0
		.amdhsa_system_sgpr_workgroup_info 0
		.amdhsa_system_vgpr_workitem_id 0
		.amdhsa_next_free_vgpr 5
		.amdhsa_next_free_sgpr 7
		.amdhsa_reserve_vcc 1
		.amdhsa_reserve_flat_scratch 0
		.amdhsa_float_round_mode_32 0
		.amdhsa_float_round_mode_16_64 0
		.amdhsa_float_denorm_mode_32 3
		.amdhsa_float_denorm_mode_16_64 3
		.amdhsa_dx10_clamp 1
		.amdhsa_ieee_mode 1
		.amdhsa_fp16_overflow 0
		.amdhsa_exception_fp_ieee_invalid_op 0
		.amdhsa_exception_fp_denorm_src 0
		.amdhsa_exception_fp_ieee_div_zero 0
		.amdhsa_exception_fp_ieee_overflow 0
		.amdhsa_exception_fp_ieee_underflow 0
		.amdhsa_exception_fp_ieee_inexact 0
		.amdhsa_exception_int_div_zero 0
	.end_amdhsa_kernel
	.section	.text._ZL21cpy_scalar_contiguousI6__halffEvPKcPcl,"axG",@progbits,_ZL21cpy_scalar_contiguousI6__halffEvPKcPcl,comdat
.Lfunc_end22:
	.size	_ZL21cpy_scalar_contiguousI6__halffEvPKcPcl, .Lfunc_end22-_ZL21cpy_scalar_contiguousI6__halffEvPKcPcl
                                        ; -- End function
	.set _ZL21cpy_scalar_contiguousI6__halffEvPKcPcl.num_vgpr, 5
	.set _ZL21cpy_scalar_contiguousI6__halffEvPKcPcl.num_agpr, 0
	.set _ZL21cpy_scalar_contiguousI6__halffEvPKcPcl.numbered_sgpr, 7
	.set _ZL21cpy_scalar_contiguousI6__halffEvPKcPcl.num_named_barrier, 0
	.set _ZL21cpy_scalar_contiguousI6__halffEvPKcPcl.private_seg_size, 0
	.set _ZL21cpy_scalar_contiguousI6__halffEvPKcPcl.uses_vcc, 1
	.set _ZL21cpy_scalar_contiguousI6__halffEvPKcPcl.uses_flat_scratch, 0
	.set _ZL21cpy_scalar_contiguousI6__halffEvPKcPcl.has_dyn_sized_stack, 0
	.set _ZL21cpy_scalar_contiguousI6__halffEvPKcPcl.has_recursion, 0
	.set _ZL21cpy_scalar_contiguousI6__halffEvPKcPcl.has_indirect_call, 0
	.section	.AMDGPU.csdata,"",@progbits
; Kernel info:
; codeLenInByte = 136
; TotalNumSgprs: 11
; NumVgprs: 5
; ScratchSize: 0
; MemoryBound: 0
; FloatMode: 240
; IeeeMode: 1
; LDSByteSize: 0 bytes/workgroup (compile time only)
; SGPRBlocks: 1
; VGPRBlocks: 1
; NumSGPRsForWavesPerEU: 11
; NumVGPRsForWavesPerEU: 5
; Occupancy: 10
; WaveLimiterHint : 0
; COMPUTE_PGM_RSRC2:SCRATCH_EN: 0
; COMPUTE_PGM_RSRC2:USER_SGPR: 6
; COMPUTE_PGM_RSRC2:TRAP_HANDLER: 0
; COMPUTE_PGM_RSRC2:TGID_X_EN: 1
; COMPUTE_PGM_RSRC2:TGID_Y_EN: 0
; COMPUTE_PGM_RSRC2:TGID_Z_EN: 0
; COMPUTE_PGM_RSRC2:TIDIG_COMP_CNT: 0
	.section	.text._ZL10cpy_scalarIXadL_ZL12cpy_1_scalarI6__halffEvPKcPcEEEvS3_S4_lllllllllllllll,"axG",@progbits,_ZL10cpy_scalarIXadL_ZL12cpy_1_scalarI6__halffEvPKcPcEEEvS3_S4_lllllllllllllll,comdat
	.globl	_ZL10cpy_scalarIXadL_ZL12cpy_1_scalarI6__halffEvPKcPcEEEvS3_S4_lllllllllllllll ; -- Begin function _ZL10cpy_scalarIXadL_ZL12cpy_1_scalarI6__halffEvPKcPcEEEvS3_S4_lllllllllllllll
	.p2align	8
	.type	_ZL10cpy_scalarIXadL_ZL12cpy_1_scalarI6__halffEvPKcPcEEEvS3_S4_lllllllllllllll,@function
_ZL10cpy_scalarIXadL_ZL12cpy_1_scalarI6__halffEvPKcPcEEEvS3_S4_lllllllllllllll: ; @_ZL10cpy_scalarIXadL_ZL12cpy_1_scalarI6__halffEvPKcPcEEEvS3_S4_lllllllllllllll
; %bb.0:
	s_load_dword s0, s[4:5], 0x94
	v_mov_b32_e32 v2, 0
	s_load_dwordx16 s[8:23], s[4:5], 0x0
	v_mov_b32_e32 v1, v2
	v_mov_b32_e32 v3, s6
	s_waitcnt lgkmcnt(0)
	s_and_b32 s0, s0, 0xffff
	v_mad_u64_u32 v[4:5], s[0:1], s0, v3, v[0:1]
	v_cmp_gt_i64_e32 vcc, s[12:13], v[4:5]
	s_and_saveexec_b64 s[0:1], vcc
	s_cbranch_execz .LBB23_26
; %bb.1:
	s_mul_i32 s0, s16, s15
	s_mul_hi_u32 s1, s16, s14
	s_add_i32 s0, s1, s0
	s_mul_i32 s1, s17, s14
	s_mul_i32 s16, s16, s14
	s_add_i32 s17, s0, s1
	s_mul_i32 s0, s16, s19
	s_mul_hi_u32 s1, s16, s18
	s_add_i32 s0, s1, s0
	s_mul_i32 s1, s17, s18
	s_add_i32 s19, s0, s1
	v_or_b32_e32 v3, s19, v5
	v_cmp_ne_u64_e32 vcc, 0, v[2:3]
	s_mul_i32 s18, s16, s18
	v_ashrrev_i32_e32 v10, 31, v5
                                        ; implicit-def: $vgpr0_vgpr1
	s_and_saveexec_b64 s[0:1], vcc
	s_xor_b64 s[2:3], exec, s[0:1]
	s_cbranch_execz .LBB23_3
; %bb.2:
	s_ashr_i32 s6, s19, 31
	s_add_u32 s0, s18, s6
	s_mov_b32 s7, s6
	s_addc_u32 s1, s19, s6
	s_xor_b64 s[12:13], s[0:1], s[6:7]
	v_cvt_f32_u32_e32 v0, s12
	v_cvt_f32_u32_e32 v1, s13
	s_sub_u32 s7, 0, s12
	s_subb_u32 s24, 0, s13
	v_madmk_f32 v0, v1, 0x4f800000, v0
	v_rcp_f32_e32 v0, v0
	v_mul_f32_e32 v0, 0x5f7ffffc, v0
	v_mul_f32_e32 v1, 0x2f800000, v0
	v_trunc_f32_e32 v1, v1
	v_madmk_f32 v0, v1, 0xcf800000, v0
	v_cvt_u32_f32_e32 v1, v1
	v_cvt_u32_f32_e32 v0, v0
	v_readfirstlane_b32 s25, v1
	v_readfirstlane_b32 s0, v0
	s_mul_i32 s1, s7, s25
	s_mul_hi_u32 s27, s7, s0
	s_mul_i32 s26, s24, s0
	s_add_i32 s1, s27, s1
	s_add_i32 s1, s1, s26
	s_mul_i32 s28, s7, s0
	s_mul_i32 s27, s0, s1
	s_mul_hi_u32 s29, s0, s28
	s_mul_hi_u32 s26, s0, s1
	s_add_u32 s27, s29, s27
	s_addc_u32 s26, 0, s26
	s_mul_hi_u32 s30, s25, s28
	s_mul_i32 s28, s25, s28
	s_add_u32 s27, s27, s28
	s_mul_hi_u32 s29, s25, s1
	s_addc_u32 s26, s26, s30
	s_addc_u32 s27, s29, 0
	s_mul_i32 s1, s25, s1
	s_add_u32 s1, s26, s1
	s_addc_u32 s26, 0, s27
	s_add_u32 s27, s0, s1
	s_cselect_b64 s[0:1], -1, 0
	s_cmp_lg_u64 s[0:1], 0
	s_addc_u32 s25, s25, s26
	s_mul_i32 s0, s7, s25
	s_mul_hi_u32 s1, s7, s27
	s_add_i32 s0, s1, s0
	s_mul_i32 s24, s24, s27
	s_add_i32 s0, s0, s24
	s_mul_i32 s7, s7, s27
	s_mul_hi_u32 s24, s25, s7
	s_mul_i32 s26, s25, s7
	s_mul_i32 s29, s27, s0
	s_mul_hi_u32 s7, s27, s7
	s_mul_hi_u32 s28, s27, s0
	s_add_u32 s7, s7, s29
	s_addc_u32 s28, 0, s28
	s_add_u32 s7, s7, s26
	s_mul_hi_u32 s1, s25, s0
	s_addc_u32 s7, s28, s24
	s_addc_u32 s1, s1, 0
	s_mul_i32 s0, s25, s0
	s_add_u32 s0, s7, s0
	s_addc_u32 s7, 0, s1
	s_add_u32 s24, s27, s0
	s_cselect_b64 s[0:1], -1, 0
	s_cmp_lg_u64 s[0:1], 0
	v_add_co_u32_e32 v0, vcc, v4, v10
	s_addc_u32 s7, s25, s7
	v_xor_b32_e32 v6, v0, v10
	v_mad_u64_u32 v[0:1], s[0:1], v6, s7, 0
	v_mul_hi_u32 v3, v6, s24
	v_addc_co_u32_e32 v2, vcc, v5, v10, vcc
	v_xor_b32_e32 v7, v2, v10
	v_add_co_u32_e32 v8, vcc, v3, v0
	v_addc_co_u32_e32 v9, vcc, 0, v1, vcc
	v_mad_u64_u32 v[0:1], s[0:1], v7, s24, 0
	v_mad_u64_u32 v[2:3], s[0:1], v7, s7, 0
	v_add_co_u32_e32 v0, vcc, v8, v0
	v_addc_co_u32_e32 v0, vcc, v9, v1, vcc
	v_addc_co_u32_e32 v1, vcc, 0, v3, vcc
	v_add_co_u32_e32 v2, vcc, v0, v2
	v_addc_co_u32_e32 v3, vcc, 0, v1, vcc
	v_mul_lo_u32 v8, s13, v2
	v_mul_lo_u32 v9, s12, v3
	v_mad_u64_u32 v[0:1], s[0:1], s12, v2, 0
	v_add3_u32 v1, v1, v9, v8
	v_sub_u32_e32 v8, v7, v1
	v_mov_b32_e32 v9, s13
	v_sub_co_u32_e32 v0, vcc, v6, v0
	v_subb_co_u32_e64 v6, s[0:1], v8, v9, vcc
	v_subrev_co_u32_e64 v8, s[0:1], s12, v0
	v_subbrev_co_u32_e64 v6, s[0:1], 0, v6, s[0:1]
	v_cmp_le_u32_e64 s[0:1], s13, v6
	v_cndmask_b32_e64 v9, 0, -1, s[0:1]
	v_cmp_le_u32_e64 s[0:1], s12, v8
	v_cndmask_b32_e64 v8, 0, -1, s[0:1]
	v_cmp_eq_u32_e64 s[0:1], s13, v6
	v_cndmask_b32_e64 v6, v9, v8, s[0:1]
	v_add_co_u32_e64 v8, s[0:1], 2, v2
	v_subb_co_u32_e32 v1, vcc, v7, v1, vcc
	v_addc_co_u32_e64 v9, s[0:1], 0, v3, s[0:1]
	v_cmp_le_u32_e32 vcc, s13, v1
	v_add_co_u32_e64 v11, s[0:1], 1, v2
	v_cndmask_b32_e64 v7, 0, -1, vcc
	v_cmp_le_u32_e32 vcc, s12, v0
	v_addc_co_u32_e64 v12, s[0:1], 0, v3, s[0:1]
	v_cndmask_b32_e64 v0, 0, -1, vcc
	v_cmp_eq_u32_e32 vcc, s13, v1
	v_cmp_ne_u32_e64 s[0:1], 0, v6
	v_cndmask_b32_e32 v0, v7, v0, vcc
	v_cndmask_b32_e64 v6, v12, v9, s[0:1]
	v_cmp_ne_u32_e32 vcc, 0, v0
	v_cndmask_b32_e64 v1, v11, v8, s[0:1]
	v_cndmask_b32_e32 v0, v3, v6, vcc
	v_cndmask_b32_e32 v1, v2, v1, vcc
	v_xor_b32_e32 v2, s6, v10
	v_xor_b32_e32 v3, v0, v2
	;; [unrolled: 1-line block ×3, first 2 shown]
	v_sub_co_u32_e32 v0, vcc, v0, v2
	v_subb_co_u32_e32 v1, vcc, v3, v2, vcc
.LBB23_3:
	s_andn2_saveexec_b64 s[0:1], s[2:3]
	s_cbranch_execz .LBB23_5
; %bb.4:
	v_cvt_f32_u32_e32 v0, s18
	s_sub_i32 s2, 0, s18
	v_rcp_iflag_f32_e32 v0, v0
	v_mul_f32_e32 v0, 0x4f7ffffe, v0
	v_cvt_u32_f32_e32 v0, v0
	v_mul_lo_u32 v1, s2, v0
	v_mul_hi_u32 v1, v0, v1
	v_add_u32_e32 v0, v0, v1
	v_mul_hi_u32 v0, v4, v0
	v_mul_lo_u32 v1, v0, s18
	v_add_u32_e32 v2, 1, v0
	v_sub_u32_e32 v1, v4, v1
	v_subrev_u32_e32 v3, s18, v1
	v_cmp_le_u32_e32 vcc, s18, v1
	v_cndmask_b32_e32 v1, v1, v3, vcc
	v_cndmask_b32_e32 v0, v0, v2, vcc
	v_add_u32_e32 v2, 1, v0
	v_cmp_le_u32_e32 vcc, s18, v1
	v_cndmask_b32_e32 v0, v0, v2, vcc
	v_mov_b32_e32 v1, 0
.LBB23_5:
	s_or_b64 exec, exec, s[0:1]
	v_mul_lo_u32 v6, s19, v0
	v_mul_lo_u32 v7, s18, v1
	v_mad_u64_u32 v[2:3], s[0:1], s18, v0, 0
	v_add3_u32 v3, v3, v7, v6
	v_sub_co_u32_e32 v6, vcc, v4, v2
	v_subb_co_u32_e32 v7, vcc, v5, v3, vcc
	v_or_b32_e32 v3, s17, v7
	v_mov_b32_e32 v2, 0
	v_cmp_ne_u64_e32 vcc, 0, v[2:3]
                                        ; implicit-def: $vgpr2_vgpr3
	s_and_saveexec_b64 s[0:1], vcc
	s_xor_b64 s[2:3], exec, s[0:1]
	s_cbranch_execz .LBB23_7
; %bb.6:
	s_ashr_i32 s6, s17, 31
	s_add_u32 s0, s16, s6
	s_mov_b32 s7, s6
	s_addc_u32 s1, s17, s6
	s_xor_b64 s[12:13], s[0:1], s[6:7]
	v_cvt_f32_u32_e32 v2, s12
	v_cvt_f32_u32_e32 v3, s13
	s_sub_u32 s7, 0, s12
	s_subb_u32 s18, 0, s13
	v_ashrrev_i32_e32 v11, 31, v7
	v_madmk_f32 v2, v3, 0x4f800000, v2
	v_rcp_f32_e32 v2, v2
	v_mul_f32_e32 v2, 0x5f7ffffc, v2
	v_mul_f32_e32 v3, 0x2f800000, v2
	v_trunc_f32_e32 v3, v3
	v_madmk_f32 v2, v3, 0xcf800000, v2
	v_cvt_u32_f32_e32 v3, v3
	v_cvt_u32_f32_e32 v2, v2
	v_readfirstlane_b32 s19, v3
	v_readfirstlane_b32 s0, v2
	s_mul_i32 s1, s7, s19
	s_mul_hi_u32 s25, s7, s0
	s_mul_i32 s24, s18, s0
	s_add_i32 s1, s25, s1
	s_add_i32 s1, s1, s24
	s_mul_i32 s26, s7, s0
	s_mul_i32 s25, s0, s1
	s_mul_hi_u32 s27, s0, s26
	s_mul_hi_u32 s24, s0, s1
	s_add_u32 s25, s27, s25
	s_addc_u32 s24, 0, s24
	s_mul_hi_u32 s28, s19, s26
	s_mul_i32 s26, s19, s26
	s_add_u32 s25, s25, s26
	s_mul_hi_u32 s27, s19, s1
	s_addc_u32 s24, s24, s28
	s_addc_u32 s25, s27, 0
	s_mul_i32 s1, s19, s1
	s_add_u32 s1, s24, s1
	s_addc_u32 s24, 0, s25
	s_add_u32 s25, s0, s1
	s_cselect_b64 s[0:1], -1, 0
	s_cmp_lg_u64 s[0:1], 0
	s_addc_u32 s19, s19, s24
	s_mul_i32 s0, s7, s19
	s_mul_hi_u32 s1, s7, s25
	s_add_i32 s0, s1, s0
	s_mul_i32 s18, s18, s25
	s_add_i32 s0, s0, s18
	s_mul_i32 s7, s7, s25
	s_mul_hi_u32 s18, s19, s7
	s_mul_i32 s24, s19, s7
	s_mul_i32 s27, s25, s0
	s_mul_hi_u32 s7, s25, s7
	s_mul_hi_u32 s26, s25, s0
	s_add_u32 s7, s7, s27
	s_addc_u32 s26, 0, s26
	s_add_u32 s7, s7, s24
	s_mul_hi_u32 s1, s19, s0
	s_addc_u32 s7, s26, s18
	s_addc_u32 s1, s1, 0
	s_mul_i32 s0, s19, s0
	s_add_u32 s0, s7, s0
	s_addc_u32 s7, 0, s1
	s_add_u32 s18, s25, s0
	s_cselect_b64 s[0:1], -1, 0
	s_cmp_lg_u64 s[0:1], 0
	v_add_co_u32_e32 v2, vcc, v6, v11
	s_addc_u32 s7, s19, s7
	v_xor_b32_e32 v12, v2, v11
	v_mad_u64_u32 v[2:3], s[0:1], v12, s7, 0
	v_mul_hi_u32 v9, v12, s18
	v_addc_co_u32_e32 v8, vcc, v7, v11, vcc
	v_xor_b32_e32 v13, v8, v11
	v_add_co_u32_e32 v14, vcc, v9, v2
	v_addc_co_u32_e32 v15, vcc, 0, v3, vcc
	v_mad_u64_u32 v[2:3], s[0:1], v13, s18, 0
	v_mad_u64_u32 v[8:9], s[0:1], v13, s7, 0
	v_add_co_u32_e32 v2, vcc, v14, v2
	v_addc_co_u32_e32 v2, vcc, v15, v3, vcc
	v_addc_co_u32_e32 v3, vcc, 0, v9, vcc
	v_add_co_u32_e32 v8, vcc, v2, v8
	v_addc_co_u32_e32 v9, vcc, 0, v3, vcc
	v_mul_lo_u32 v14, s13, v8
	v_mul_lo_u32 v15, s12, v9
	v_mad_u64_u32 v[2:3], s[0:1], s12, v8, 0
	v_add3_u32 v3, v3, v15, v14
	v_sub_u32_e32 v14, v13, v3
	v_mov_b32_e32 v15, s13
	v_sub_co_u32_e32 v2, vcc, v12, v2
	v_subb_co_u32_e64 v12, s[0:1], v14, v15, vcc
	v_subrev_co_u32_e64 v14, s[0:1], s12, v2
	v_subbrev_co_u32_e64 v12, s[0:1], 0, v12, s[0:1]
	v_cmp_le_u32_e64 s[0:1], s13, v12
	v_cndmask_b32_e64 v15, 0, -1, s[0:1]
	v_cmp_le_u32_e64 s[0:1], s12, v14
	v_cndmask_b32_e64 v14, 0, -1, s[0:1]
	v_cmp_eq_u32_e64 s[0:1], s13, v12
	v_cndmask_b32_e64 v12, v15, v14, s[0:1]
	v_add_co_u32_e64 v14, s[0:1], 2, v8
	v_subb_co_u32_e32 v3, vcc, v13, v3, vcc
	v_addc_co_u32_e64 v15, s[0:1], 0, v9, s[0:1]
	v_cmp_le_u32_e32 vcc, s13, v3
	v_add_co_u32_e64 v16, s[0:1], 1, v8
	v_cndmask_b32_e64 v13, 0, -1, vcc
	v_cmp_le_u32_e32 vcc, s12, v2
	v_addc_co_u32_e64 v17, s[0:1], 0, v9, s[0:1]
	v_cndmask_b32_e64 v2, 0, -1, vcc
	v_cmp_eq_u32_e32 vcc, s13, v3
	v_cmp_ne_u32_e64 s[0:1], 0, v12
	v_cndmask_b32_e32 v2, v13, v2, vcc
	v_cndmask_b32_e64 v12, v17, v15, s[0:1]
	v_cmp_ne_u32_e32 vcc, 0, v2
	v_cndmask_b32_e64 v3, v16, v14, s[0:1]
	v_cndmask_b32_e32 v2, v9, v12, vcc
	v_cndmask_b32_e32 v3, v8, v3, vcc
	v_xor_b32_e32 v8, s6, v11
	v_xor_b32_e32 v9, v2, v8
	;; [unrolled: 1-line block ×3, first 2 shown]
	v_sub_co_u32_e32 v2, vcc, v2, v8
	v_subb_co_u32_e32 v3, vcc, v9, v8, vcc
.LBB23_7:
	s_andn2_saveexec_b64 s[0:1], s[2:3]
	s_cbranch_execz .LBB23_9
; %bb.8:
	v_cvt_f32_u32_e32 v2, s16
	s_sub_i32 s2, 0, s16
	v_rcp_iflag_f32_e32 v2, v2
	v_mul_f32_e32 v2, 0x4f7ffffe, v2
	v_cvt_u32_f32_e32 v2, v2
	v_mul_lo_u32 v3, s2, v2
	v_mul_hi_u32 v3, v2, v3
	v_add_u32_e32 v2, v2, v3
	v_mul_hi_u32 v2, v6, v2
	v_mul_lo_u32 v3, v2, s16
	v_add_u32_e32 v8, 1, v2
	v_sub_u32_e32 v3, v6, v3
	v_subrev_u32_e32 v9, s16, v3
	v_cmp_le_u32_e32 vcc, s16, v3
	v_cndmask_b32_e32 v3, v3, v9, vcc
	v_cndmask_b32_e32 v2, v2, v8, vcc
	v_add_u32_e32 v8, 1, v2
	v_cmp_le_u32_e32 vcc, s16, v3
	v_cndmask_b32_e32 v2, v2, v8, vcc
	v_mov_b32_e32 v3, 0
.LBB23_9:
	s_or_b64 exec, exec, s[0:1]
	v_mul_lo_u32 v11, s17, v2
	v_mul_lo_u32 v12, s16, v3
	v_mad_u64_u32 v[8:9], s[0:1], s16, v2, 0
	v_add3_u32 v9, v9, v12, v11
	v_sub_co_u32_e32 v12, vcc, v6, v8
	v_subb_co_u32_e32 v13, vcc, v7, v9, vcc
	v_or_b32_e32 v7, s15, v13
	v_mov_b32_e32 v6, 0
	v_cmp_ne_u64_e32 vcc, 0, v[6:7]
                                        ; implicit-def: $vgpr6_vgpr7
	s_and_saveexec_b64 s[0:1], vcc
	s_xor_b64 s[2:3], exec, s[0:1]
	s_cbranch_execz .LBB23_11
; %bb.10:
	s_ashr_i32 s6, s15, 31
	s_add_u32 s0, s14, s6
	s_mov_b32 s7, s6
	s_addc_u32 s1, s15, s6
	s_xor_b64 s[12:13], s[0:1], s[6:7]
	v_cvt_f32_u32_e32 v6, s12
	v_cvt_f32_u32_e32 v7, s13
	s_sub_u32 s7, 0, s12
	s_subb_u32 s16, 0, s13
	v_ashrrev_i32_e32 v11, 31, v13
	v_madmk_f32 v6, v7, 0x4f800000, v6
	v_rcp_f32_e32 v6, v6
	v_mul_f32_e32 v6, 0x5f7ffffc, v6
	v_mul_f32_e32 v7, 0x2f800000, v6
	v_trunc_f32_e32 v7, v7
	v_madmk_f32 v6, v7, 0xcf800000, v6
	v_cvt_u32_f32_e32 v7, v7
	v_cvt_u32_f32_e32 v6, v6
	v_readfirstlane_b32 s17, v7
	v_readfirstlane_b32 s0, v6
	s_mul_i32 s1, s7, s17
	s_mul_hi_u32 s19, s7, s0
	s_mul_i32 s18, s16, s0
	s_add_i32 s1, s19, s1
	s_add_i32 s1, s1, s18
	s_mul_i32 s24, s7, s0
	s_mul_i32 s19, s0, s1
	s_mul_hi_u32 s25, s0, s24
	s_mul_hi_u32 s18, s0, s1
	s_add_u32 s19, s25, s19
	s_addc_u32 s18, 0, s18
	s_mul_hi_u32 s26, s17, s24
	s_mul_i32 s24, s17, s24
	s_add_u32 s19, s19, s24
	s_mul_hi_u32 s25, s17, s1
	s_addc_u32 s18, s18, s26
	s_addc_u32 s19, s25, 0
	s_mul_i32 s1, s17, s1
	s_add_u32 s1, s18, s1
	s_addc_u32 s18, 0, s19
	s_add_u32 s19, s0, s1
	s_cselect_b64 s[0:1], -1, 0
	s_cmp_lg_u64 s[0:1], 0
	s_addc_u32 s17, s17, s18
	s_mul_i32 s0, s7, s17
	s_mul_hi_u32 s1, s7, s19
	s_add_i32 s0, s1, s0
	s_mul_i32 s16, s16, s19
	s_add_i32 s0, s0, s16
	s_mul_i32 s7, s7, s19
	s_mul_hi_u32 s16, s17, s7
	s_mul_i32 s18, s17, s7
	s_mul_i32 s25, s19, s0
	s_mul_hi_u32 s7, s19, s7
	s_mul_hi_u32 s24, s19, s0
	s_add_u32 s7, s7, s25
	s_addc_u32 s24, 0, s24
	s_add_u32 s7, s7, s18
	s_mul_hi_u32 s1, s17, s0
	s_addc_u32 s7, s24, s16
	s_addc_u32 s1, s1, 0
	s_mul_i32 s0, s17, s0
	s_add_u32 s0, s7, s0
	s_addc_u32 s7, 0, s1
	s_add_u32 s16, s19, s0
	s_cselect_b64 s[0:1], -1, 0
	s_cmp_lg_u64 s[0:1], 0
	v_add_co_u32_e32 v6, vcc, v12, v11
	s_addc_u32 s7, s17, s7
	v_xor_b32_e32 v14, v6, v11
	v_mad_u64_u32 v[6:7], s[0:1], v14, s7, 0
	v_mul_hi_u32 v9, v14, s16
	v_addc_co_u32_e32 v8, vcc, v13, v11, vcc
	v_xor_b32_e32 v15, v8, v11
	v_add_co_u32_e32 v16, vcc, v9, v6
	v_addc_co_u32_e32 v17, vcc, 0, v7, vcc
	v_mad_u64_u32 v[6:7], s[0:1], v15, s16, 0
	v_mad_u64_u32 v[8:9], s[0:1], v15, s7, 0
	v_add_co_u32_e32 v6, vcc, v16, v6
	v_addc_co_u32_e32 v6, vcc, v17, v7, vcc
	v_addc_co_u32_e32 v7, vcc, 0, v9, vcc
	v_add_co_u32_e32 v8, vcc, v6, v8
	v_addc_co_u32_e32 v9, vcc, 0, v7, vcc
	v_mul_lo_u32 v16, s13, v8
	v_mul_lo_u32 v17, s12, v9
	v_mad_u64_u32 v[6:7], s[0:1], s12, v8, 0
	v_add3_u32 v7, v7, v17, v16
	v_sub_u32_e32 v16, v15, v7
	v_mov_b32_e32 v17, s13
	v_sub_co_u32_e32 v6, vcc, v14, v6
	v_subb_co_u32_e64 v14, s[0:1], v16, v17, vcc
	v_subrev_co_u32_e64 v16, s[0:1], s12, v6
	v_subbrev_co_u32_e64 v14, s[0:1], 0, v14, s[0:1]
	v_cmp_le_u32_e64 s[0:1], s13, v14
	v_cndmask_b32_e64 v17, 0, -1, s[0:1]
	v_cmp_le_u32_e64 s[0:1], s12, v16
	v_cndmask_b32_e64 v16, 0, -1, s[0:1]
	v_cmp_eq_u32_e64 s[0:1], s13, v14
	v_cndmask_b32_e64 v14, v17, v16, s[0:1]
	v_add_co_u32_e64 v16, s[0:1], 2, v8
	v_subb_co_u32_e32 v7, vcc, v15, v7, vcc
	v_addc_co_u32_e64 v17, s[0:1], 0, v9, s[0:1]
	v_cmp_le_u32_e32 vcc, s13, v7
	v_add_co_u32_e64 v18, s[0:1], 1, v8
	v_cndmask_b32_e64 v15, 0, -1, vcc
	v_cmp_le_u32_e32 vcc, s12, v6
	v_addc_co_u32_e64 v19, s[0:1], 0, v9, s[0:1]
	v_cndmask_b32_e64 v6, 0, -1, vcc
	v_cmp_eq_u32_e32 vcc, s13, v7
	v_cmp_ne_u32_e64 s[0:1], 0, v14
	v_cndmask_b32_e32 v6, v15, v6, vcc
	v_cndmask_b32_e64 v14, v19, v17, s[0:1]
	v_cmp_ne_u32_e32 vcc, 0, v6
	v_cndmask_b32_e64 v7, v18, v16, s[0:1]
	v_cndmask_b32_e32 v6, v9, v14, vcc
	v_cndmask_b32_e32 v7, v8, v7, vcc
	v_xor_b32_e32 v8, s6, v11
	v_xor_b32_e32 v9, v6, v8
	;; [unrolled: 1-line block ×3, first 2 shown]
	v_sub_co_u32_e32 v6, vcc, v6, v8
	v_subb_co_u32_e32 v7, vcc, v9, v8, vcc
.LBB23_11:
	s_andn2_saveexec_b64 s[0:1], s[2:3]
	s_cbranch_execz .LBB23_13
; %bb.12:
	v_cvt_f32_u32_e32 v6, s14
	s_sub_i32 s2, 0, s14
	v_rcp_iflag_f32_e32 v6, v6
	v_mul_f32_e32 v6, 0x4f7ffffe, v6
	v_cvt_u32_f32_e32 v6, v6
	v_mul_lo_u32 v7, s2, v6
	v_mul_hi_u32 v7, v6, v7
	v_add_u32_e32 v6, v6, v7
	v_mul_hi_u32 v6, v12, v6
	v_mul_lo_u32 v7, v6, s14
	v_add_u32_e32 v8, 1, v6
	v_sub_u32_e32 v7, v12, v7
	v_subrev_u32_e32 v9, s14, v7
	v_cmp_le_u32_e32 vcc, s14, v7
	v_cndmask_b32_e32 v7, v7, v9, vcc
	v_cndmask_b32_e32 v6, v6, v8, vcc
	v_add_u32_e32 v8, 1, v6
	v_cmp_le_u32_e32 vcc, s14, v7
	v_cndmask_b32_e32 v6, v6, v8, vcc
	v_mov_b32_e32 v7, 0
.LBB23_13:
	s_or_b64 exec, exec, s[0:1]
	s_load_dwordx16 s[36:51], s[4:5], 0x40
	v_mov_b32_e32 v8, 0
	s_waitcnt lgkmcnt(0)
	s_mul_i32 s0, s42, s41
	s_mul_hi_u32 s1, s42, s40
	s_mul_i32 s2, s43, s40
	s_mul_i32 s16, s42, s40
	s_add_i32 s17, s1, s0
	s_mul_i32 s0, s16, s45
	s_add_i32 s17, s17, s2
	s_mul_hi_u32 s1, s16, s44
	s_add_i32 s0, s1, s0
	s_mul_i32 s1, s17, s44
	s_add_i32 s18, s0, s1
	v_or_b32_e32 v9, s18, v5
	v_cmp_ne_u64_e32 vcc, 0, v[8:9]
	s_mul_i32 s19, s16, s44
                                        ; implicit-def: $vgpr8_vgpr9
	s_and_saveexec_b64 s[0:1], vcc
	s_xor_b64 s[2:3], exec, s[0:1]
	s_cbranch_execz .LBB23_15
; %bb.14:
	s_ashr_i32 s6, s18, 31
	s_add_u32 s0, s19, s6
	s_mov_b32 s7, s6
	s_addc_u32 s1, s18, s6
	s_xor_b64 s[12:13], s[0:1], s[6:7]
	v_cvt_f32_u32_e32 v8, s12
	v_cvt_f32_u32_e32 v9, s13
	s_sub_u32 s7, 0, s12
	s_subb_u32 s24, 0, s13
	v_madmk_f32 v8, v9, 0x4f800000, v8
	v_rcp_f32_e32 v8, v8
	v_mul_f32_e32 v8, 0x5f7ffffc, v8
	v_mul_f32_e32 v9, 0x2f800000, v8
	v_trunc_f32_e32 v9, v9
	v_madmk_f32 v8, v9, 0xcf800000, v8
	v_cvt_u32_f32_e32 v9, v9
	v_cvt_u32_f32_e32 v8, v8
	v_readfirstlane_b32 s25, v9
	v_readfirstlane_b32 s0, v8
	s_mul_i32 s1, s7, s25
	s_mul_hi_u32 s27, s7, s0
	s_mul_i32 s26, s24, s0
	s_add_i32 s1, s27, s1
	s_add_i32 s1, s1, s26
	s_mul_i32 s28, s7, s0
	s_mul_i32 s27, s0, s1
	s_mul_hi_u32 s29, s0, s28
	s_mul_hi_u32 s26, s0, s1
	s_add_u32 s27, s29, s27
	s_addc_u32 s26, 0, s26
	s_mul_hi_u32 s30, s25, s28
	s_mul_i32 s28, s25, s28
	s_add_u32 s27, s27, s28
	s_mul_hi_u32 s29, s25, s1
	s_addc_u32 s26, s26, s30
	s_addc_u32 s27, s29, 0
	s_mul_i32 s1, s25, s1
	s_add_u32 s1, s26, s1
	s_addc_u32 s26, 0, s27
	s_add_u32 s27, s0, s1
	s_cselect_b64 s[0:1], -1, 0
	s_cmp_lg_u64 s[0:1], 0
	s_addc_u32 s25, s25, s26
	s_mul_i32 s0, s7, s25
	s_mul_hi_u32 s1, s7, s27
	s_add_i32 s0, s1, s0
	s_mul_i32 s24, s24, s27
	s_add_i32 s0, s0, s24
	s_mul_i32 s7, s7, s27
	s_mul_hi_u32 s24, s25, s7
	s_mul_i32 s26, s25, s7
	s_mul_i32 s29, s27, s0
	s_mul_hi_u32 s7, s27, s7
	s_mul_hi_u32 s28, s27, s0
	s_add_u32 s7, s7, s29
	s_addc_u32 s28, 0, s28
	s_add_u32 s7, s7, s26
	s_mul_hi_u32 s1, s25, s0
	s_addc_u32 s7, s28, s24
	s_addc_u32 s1, s1, 0
	s_mul_i32 s0, s25, s0
	s_add_u32 s0, s7, s0
	s_addc_u32 s7, 0, s1
	s_add_u32 s24, s27, s0
	s_cselect_b64 s[0:1], -1, 0
	s_cmp_lg_u64 s[0:1], 0
	v_add_co_u32_e32 v8, vcc, v4, v10
	s_addc_u32 s7, s25, s7
	v_xor_b32_e32 v16, v8, v10
	v_mad_u64_u32 v[8:9], s[0:1], v16, s7, 0
	v_mul_hi_u32 v14, v16, s24
	v_addc_co_u32_e32 v11, vcc, v5, v10, vcc
	v_xor_b32_e32 v11, v11, v10
	v_add_co_u32_e32 v17, vcc, v14, v8
	v_addc_co_u32_e32 v18, vcc, 0, v9, vcc
	v_mad_u64_u32 v[8:9], s[0:1], v11, s24, 0
	v_mad_u64_u32 v[14:15], s[0:1], v11, s7, 0
	v_add_co_u32_e32 v8, vcc, v17, v8
	v_addc_co_u32_e32 v8, vcc, v18, v9, vcc
	v_addc_co_u32_e32 v9, vcc, 0, v15, vcc
	v_add_co_u32_e32 v14, vcc, v8, v14
	v_addc_co_u32_e32 v15, vcc, 0, v9, vcc
	v_mul_lo_u32 v17, s13, v14
	v_mul_lo_u32 v18, s12, v15
	v_mad_u64_u32 v[8:9], s[0:1], s12, v14, 0
	v_xor_b32_e32 v10, s6, v10
	v_add3_u32 v9, v9, v18, v17
	v_sub_u32_e32 v17, v11, v9
	v_mov_b32_e32 v18, s13
	v_sub_co_u32_e32 v8, vcc, v16, v8
	v_subb_co_u32_e64 v16, s[0:1], v17, v18, vcc
	v_subrev_co_u32_e64 v17, s[0:1], s12, v8
	v_subbrev_co_u32_e64 v16, s[0:1], 0, v16, s[0:1]
	v_cmp_le_u32_e64 s[0:1], s13, v16
	v_cndmask_b32_e64 v18, 0, -1, s[0:1]
	v_cmp_le_u32_e64 s[0:1], s12, v17
	v_cndmask_b32_e64 v17, 0, -1, s[0:1]
	v_cmp_eq_u32_e64 s[0:1], s13, v16
	v_cndmask_b32_e64 v16, v18, v17, s[0:1]
	v_add_co_u32_e64 v17, s[0:1], 2, v14
	v_subb_co_u32_e32 v9, vcc, v11, v9, vcc
	v_addc_co_u32_e64 v18, s[0:1], 0, v15, s[0:1]
	v_cmp_le_u32_e32 vcc, s13, v9
	v_add_co_u32_e64 v19, s[0:1], 1, v14
	v_cndmask_b32_e64 v11, 0, -1, vcc
	v_cmp_le_u32_e32 vcc, s12, v8
	v_addc_co_u32_e64 v20, s[0:1], 0, v15, s[0:1]
	v_cndmask_b32_e64 v8, 0, -1, vcc
	v_cmp_eq_u32_e32 vcc, s13, v9
	v_cmp_ne_u32_e64 s[0:1], 0, v16
	v_cndmask_b32_e32 v8, v11, v8, vcc
	v_cndmask_b32_e64 v16, v20, v18, s[0:1]
	v_cmp_ne_u32_e32 vcc, 0, v8
	v_cndmask_b32_e64 v9, v19, v17, s[0:1]
	v_cndmask_b32_e32 v8, v15, v16, vcc
	v_cndmask_b32_e32 v9, v14, v9, vcc
	v_xor_b32_e32 v11, v8, v10
	v_xor_b32_e32 v8, v9, v10
	v_sub_co_u32_e32 v8, vcc, v8, v10
	v_subb_co_u32_e32 v9, vcc, v11, v10, vcc
.LBB23_15:
	s_andn2_saveexec_b64 s[0:1], s[2:3]
	s_cbranch_execz .LBB23_17
; %bb.16:
	v_cvt_f32_u32_e32 v8, s19
	s_sub_i32 s2, 0, s19
	v_rcp_iflag_f32_e32 v8, v8
	v_mul_f32_e32 v8, 0x4f7ffffe, v8
	v_cvt_u32_f32_e32 v8, v8
	v_mul_lo_u32 v9, s2, v8
	v_mul_hi_u32 v9, v8, v9
	v_add_u32_e32 v8, v8, v9
	v_mul_hi_u32 v8, v4, v8
	v_mul_lo_u32 v9, v8, s19
	v_add_u32_e32 v10, 1, v8
	v_sub_u32_e32 v9, v4, v9
	v_subrev_u32_e32 v11, s19, v9
	v_cmp_le_u32_e32 vcc, s19, v9
	v_cndmask_b32_e32 v9, v9, v11, vcc
	v_cndmask_b32_e32 v8, v8, v10, vcc
	v_add_u32_e32 v10, 1, v8
	v_cmp_le_u32_e32 vcc, s19, v9
	v_cndmask_b32_e32 v8, v8, v10, vcc
	v_mov_b32_e32 v9, 0
.LBB23_17:
	s_or_b64 exec, exec, s[0:1]
	v_mul_lo_u32 v14, s18, v8
	v_mul_lo_u32 v15, s19, v9
	v_mad_u64_u32 v[10:11], s[0:1], s19, v8, 0
	v_add3_u32 v11, v11, v15, v14
	v_sub_co_u32_e32 v10, vcc, v4, v10
	v_subb_co_u32_e32 v11, vcc, v5, v11, vcc
	v_or_b32_e32 v5, s17, v11
	v_mov_b32_e32 v4, 0
	v_cmp_ne_u64_e32 vcc, 0, v[4:5]
                                        ; implicit-def: $vgpr4_vgpr5
	s_and_saveexec_b64 s[0:1], vcc
	s_xor_b64 s[2:3], exec, s[0:1]
	s_cbranch_execz .LBB23_19
; %bb.18:
	s_ashr_i32 s6, s17, 31
	s_add_u32 s0, s16, s6
	s_mov_b32 s7, s6
	s_addc_u32 s1, s17, s6
	s_xor_b64 s[12:13], s[0:1], s[6:7]
	v_cvt_f32_u32_e32 v4, s12
	v_cvt_f32_u32_e32 v5, s13
	s_sub_u32 s7, 0, s12
	s_subb_u32 s18, 0, s13
	v_ashrrev_i32_e32 v16, 31, v11
	v_madmk_f32 v4, v5, 0x4f800000, v4
	v_rcp_f32_e32 v4, v4
	v_mul_f32_e32 v4, 0x5f7ffffc, v4
	v_mul_f32_e32 v5, 0x2f800000, v4
	v_trunc_f32_e32 v5, v5
	v_madmk_f32 v4, v5, 0xcf800000, v4
	v_cvt_u32_f32_e32 v5, v5
	v_cvt_u32_f32_e32 v4, v4
	v_readfirstlane_b32 s19, v5
	v_readfirstlane_b32 s0, v4
	s_mul_i32 s1, s7, s19
	s_mul_hi_u32 s25, s7, s0
	s_mul_i32 s24, s18, s0
	s_add_i32 s1, s25, s1
	s_add_i32 s1, s1, s24
	s_mul_i32 s26, s7, s0
	s_mul_i32 s25, s0, s1
	s_mul_hi_u32 s27, s0, s26
	s_mul_hi_u32 s24, s0, s1
	s_add_u32 s25, s27, s25
	s_addc_u32 s24, 0, s24
	s_mul_hi_u32 s28, s19, s26
	s_mul_i32 s26, s19, s26
	s_add_u32 s25, s25, s26
	s_mul_hi_u32 s27, s19, s1
	s_addc_u32 s24, s24, s28
	s_addc_u32 s25, s27, 0
	s_mul_i32 s1, s19, s1
	s_add_u32 s1, s24, s1
	s_addc_u32 s24, 0, s25
	s_add_u32 s25, s0, s1
	s_cselect_b64 s[0:1], -1, 0
	s_cmp_lg_u64 s[0:1], 0
	s_addc_u32 s19, s19, s24
	s_mul_i32 s0, s7, s19
	s_mul_hi_u32 s1, s7, s25
	s_add_i32 s0, s1, s0
	s_mul_i32 s18, s18, s25
	s_add_i32 s0, s0, s18
	s_mul_i32 s7, s7, s25
	s_mul_hi_u32 s18, s19, s7
	s_mul_i32 s24, s19, s7
	s_mul_i32 s27, s25, s0
	s_mul_hi_u32 s7, s25, s7
	s_mul_hi_u32 s26, s25, s0
	s_add_u32 s7, s7, s27
	s_addc_u32 s26, 0, s26
	s_add_u32 s7, s7, s24
	s_mul_hi_u32 s1, s19, s0
	s_addc_u32 s7, s26, s18
	s_addc_u32 s1, s1, 0
	s_mul_i32 s0, s19, s0
	s_add_u32 s0, s7, s0
	s_addc_u32 s7, 0, s1
	s_add_u32 s18, s25, s0
	s_cselect_b64 s[0:1], -1, 0
	s_cmp_lg_u64 s[0:1], 0
	v_add_co_u32_e32 v4, vcc, v10, v16
	s_addc_u32 s7, s19, s7
	v_xor_b32_e32 v17, v4, v16
	v_mad_u64_u32 v[4:5], s[0:1], v17, s7, 0
	v_mul_hi_u32 v15, v17, s18
	v_addc_co_u32_e32 v14, vcc, v11, v16, vcc
	v_xor_b32_e32 v18, v14, v16
	v_add_co_u32_e32 v19, vcc, v15, v4
	v_addc_co_u32_e32 v20, vcc, 0, v5, vcc
	v_mad_u64_u32 v[4:5], s[0:1], v18, s18, 0
	v_mad_u64_u32 v[14:15], s[0:1], v18, s7, 0
	v_add_co_u32_e32 v4, vcc, v19, v4
	v_addc_co_u32_e32 v4, vcc, v20, v5, vcc
	v_addc_co_u32_e32 v5, vcc, 0, v15, vcc
	v_add_co_u32_e32 v14, vcc, v4, v14
	v_addc_co_u32_e32 v15, vcc, 0, v5, vcc
	v_mul_lo_u32 v19, s13, v14
	v_mul_lo_u32 v20, s12, v15
	v_mad_u64_u32 v[4:5], s[0:1], s12, v14, 0
	v_add3_u32 v5, v5, v20, v19
	v_sub_u32_e32 v19, v18, v5
	v_mov_b32_e32 v20, s13
	v_sub_co_u32_e32 v4, vcc, v17, v4
	v_subb_co_u32_e64 v17, s[0:1], v19, v20, vcc
	v_subrev_co_u32_e64 v19, s[0:1], s12, v4
	v_subbrev_co_u32_e64 v17, s[0:1], 0, v17, s[0:1]
	v_cmp_le_u32_e64 s[0:1], s13, v17
	v_cndmask_b32_e64 v20, 0, -1, s[0:1]
	v_cmp_le_u32_e64 s[0:1], s12, v19
	v_cndmask_b32_e64 v19, 0, -1, s[0:1]
	v_cmp_eq_u32_e64 s[0:1], s13, v17
	v_cndmask_b32_e64 v17, v20, v19, s[0:1]
	v_add_co_u32_e64 v19, s[0:1], 2, v14
	v_subb_co_u32_e32 v5, vcc, v18, v5, vcc
	v_addc_co_u32_e64 v20, s[0:1], 0, v15, s[0:1]
	v_cmp_le_u32_e32 vcc, s13, v5
	v_add_co_u32_e64 v21, s[0:1], 1, v14
	v_cndmask_b32_e64 v18, 0, -1, vcc
	v_cmp_le_u32_e32 vcc, s12, v4
	v_addc_co_u32_e64 v22, s[0:1], 0, v15, s[0:1]
	v_cndmask_b32_e64 v4, 0, -1, vcc
	v_cmp_eq_u32_e32 vcc, s13, v5
	v_cmp_ne_u32_e64 s[0:1], 0, v17
	v_cndmask_b32_e32 v4, v18, v4, vcc
	v_cndmask_b32_e64 v17, v22, v20, s[0:1]
	v_cmp_ne_u32_e32 vcc, 0, v4
	v_cndmask_b32_e64 v5, v21, v19, s[0:1]
	v_cndmask_b32_e32 v4, v15, v17, vcc
	v_cndmask_b32_e32 v5, v14, v5, vcc
	v_xor_b32_e32 v14, s6, v16
	v_xor_b32_e32 v15, v4, v14
	v_xor_b32_e32 v4, v5, v14
	v_sub_co_u32_e32 v4, vcc, v4, v14
	v_subb_co_u32_e32 v5, vcc, v15, v14, vcc
.LBB23_19:
	s_andn2_saveexec_b64 s[0:1], s[2:3]
	s_cbranch_execz .LBB23_21
; %bb.20:
	v_cvt_f32_u32_e32 v4, s16
	s_sub_i32 s2, 0, s16
	v_rcp_iflag_f32_e32 v4, v4
	v_mul_f32_e32 v4, 0x4f7ffffe, v4
	v_cvt_u32_f32_e32 v4, v4
	v_mul_lo_u32 v5, s2, v4
	v_mul_hi_u32 v5, v4, v5
	v_add_u32_e32 v4, v4, v5
	v_mul_hi_u32 v4, v10, v4
	v_mul_lo_u32 v5, v4, s16
	v_add_u32_e32 v14, 1, v4
	v_sub_u32_e32 v5, v10, v5
	v_subrev_u32_e32 v15, s16, v5
	v_cmp_le_u32_e32 vcc, s16, v5
	v_cndmask_b32_e32 v5, v5, v15, vcc
	v_cndmask_b32_e32 v4, v4, v14, vcc
	v_add_u32_e32 v14, 1, v4
	v_cmp_le_u32_e32 vcc, s16, v5
	v_cndmask_b32_e32 v4, v4, v14, vcc
	v_mov_b32_e32 v5, 0
.LBB23_21:
	s_or_b64 exec, exec, s[0:1]
	v_mul_lo_u32 v16, s17, v4
	v_mul_lo_u32 v17, s16, v5
	v_mad_u64_u32 v[14:15], s[0:1], s16, v4, 0
	v_add3_u32 v15, v15, v17, v16
	v_sub_co_u32_e32 v14, vcc, v10, v14
	v_subb_co_u32_e32 v15, vcc, v11, v15, vcc
	v_or_b32_e32 v11, s41, v15
	v_mov_b32_e32 v10, 0
	v_cmp_ne_u64_e32 vcc, 0, v[10:11]
                                        ; implicit-def: $vgpr10_vgpr11
	s_and_saveexec_b64 s[0:1], vcc
	s_xor_b64 s[2:3], exec, s[0:1]
	s_cbranch_execz .LBB23_23
; %bb.22:
	s_ashr_i32 s6, s41, 31
	s_add_u32 s0, s40, s6
	s_mov_b32 s7, s6
	s_addc_u32 s1, s41, s6
	s_xor_b64 s[12:13], s[0:1], s[6:7]
	v_cvt_f32_u32_e32 v10, s12
	v_cvt_f32_u32_e32 v11, s13
	s_sub_u32 s7, 0, s12
	s_subb_u32 s16, 0, s13
	v_ashrrev_i32_e32 v18, 31, v15
	v_madmk_f32 v10, v11, 0x4f800000, v10
	v_rcp_f32_e32 v10, v10
	v_mul_f32_e32 v10, 0x5f7ffffc, v10
	v_mul_f32_e32 v11, 0x2f800000, v10
	v_trunc_f32_e32 v11, v11
	v_madmk_f32 v10, v11, 0xcf800000, v10
	v_cvt_u32_f32_e32 v11, v11
	v_cvt_u32_f32_e32 v10, v10
	v_readfirstlane_b32 s17, v11
	v_readfirstlane_b32 s0, v10
	s_mul_i32 s1, s7, s17
	s_mul_hi_u32 s19, s7, s0
	s_mul_i32 s18, s16, s0
	s_add_i32 s1, s19, s1
	s_add_i32 s1, s1, s18
	s_mul_i32 s24, s7, s0
	s_mul_i32 s19, s0, s1
	s_mul_hi_u32 s25, s0, s24
	s_mul_hi_u32 s18, s0, s1
	s_add_u32 s19, s25, s19
	s_addc_u32 s18, 0, s18
	s_mul_hi_u32 s26, s17, s24
	s_mul_i32 s24, s17, s24
	s_add_u32 s19, s19, s24
	s_mul_hi_u32 s25, s17, s1
	s_addc_u32 s18, s18, s26
	s_addc_u32 s19, s25, 0
	s_mul_i32 s1, s17, s1
	s_add_u32 s1, s18, s1
	s_addc_u32 s18, 0, s19
	s_add_u32 s19, s0, s1
	s_cselect_b64 s[0:1], -1, 0
	s_cmp_lg_u64 s[0:1], 0
	s_addc_u32 s17, s17, s18
	s_mul_i32 s0, s7, s17
	s_mul_hi_u32 s1, s7, s19
	s_add_i32 s0, s1, s0
	s_mul_i32 s16, s16, s19
	s_add_i32 s0, s0, s16
	s_mul_i32 s7, s7, s19
	s_mul_hi_u32 s16, s17, s7
	s_mul_i32 s18, s17, s7
	s_mul_i32 s25, s19, s0
	s_mul_hi_u32 s7, s19, s7
	s_mul_hi_u32 s24, s19, s0
	s_add_u32 s7, s7, s25
	s_addc_u32 s24, 0, s24
	s_add_u32 s7, s7, s18
	s_mul_hi_u32 s1, s17, s0
	s_addc_u32 s7, s24, s16
	s_addc_u32 s1, s1, 0
	s_mul_i32 s0, s17, s0
	s_add_u32 s0, s7, s0
	s_addc_u32 s7, 0, s1
	s_add_u32 s16, s19, s0
	s_cselect_b64 s[0:1], -1, 0
	s_cmp_lg_u64 s[0:1], 0
	v_add_co_u32_e32 v10, vcc, v14, v18
	s_addc_u32 s7, s17, s7
	v_xor_b32_e32 v19, v10, v18
	v_mad_u64_u32 v[10:11], s[0:1], v19, s7, 0
	v_mul_hi_u32 v17, v19, s16
	v_addc_co_u32_e32 v16, vcc, v15, v18, vcc
	v_xor_b32_e32 v20, v16, v18
	v_add_co_u32_e32 v21, vcc, v17, v10
	v_addc_co_u32_e32 v22, vcc, 0, v11, vcc
	v_mad_u64_u32 v[10:11], s[0:1], v20, s16, 0
	v_mad_u64_u32 v[16:17], s[0:1], v20, s7, 0
	v_add_co_u32_e32 v10, vcc, v21, v10
	v_addc_co_u32_e32 v10, vcc, v22, v11, vcc
	v_addc_co_u32_e32 v11, vcc, 0, v17, vcc
	v_add_co_u32_e32 v16, vcc, v10, v16
	v_addc_co_u32_e32 v17, vcc, 0, v11, vcc
	v_mul_lo_u32 v21, s13, v16
	v_mul_lo_u32 v22, s12, v17
	v_mad_u64_u32 v[10:11], s[0:1], s12, v16, 0
	v_add3_u32 v11, v11, v22, v21
	v_sub_u32_e32 v21, v20, v11
	v_mov_b32_e32 v22, s13
	v_sub_co_u32_e32 v10, vcc, v19, v10
	v_subb_co_u32_e64 v19, s[0:1], v21, v22, vcc
	v_subrev_co_u32_e64 v21, s[0:1], s12, v10
	v_subbrev_co_u32_e64 v19, s[0:1], 0, v19, s[0:1]
	v_cmp_le_u32_e64 s[0:1], s13, v19
	v_cndmask_b32_e64 v22, 0, -1, s[0:1]
	v_cmp_le_u32_e64 s[0:1], s12, v21
	v_cndmask_b32_e64 v21, 0, -1, s[0:1]
	v_cmp_eq_u32_e64 s[0:1], s13, v19
	v_cndmask_b32_e64 v19, v22, v21, s[0:1]
	v_add_co_u32_e64 v21, s[0:1], 2, v16
	v_subb_co_u32_e32 v11, vcc, v20, v11, vcc
	v_addc_co_u32_e64 v22, s[0:1], 0, v17, s[0:1]
	v_cmp_le_u32_e32 vcc, s13, v11
	v_add_co_u32_e64 v23, s[0:1], 1, v16
	v_cndmask_b32_e64 v20, 0, -1, vcc
	v_cmp_le_u32_e32 vcc, s12, v10
	v_addc_co_u32_e64 v24, s[0:1], 0, v17, s[0:1]
	v_cndmask_b32_e64 v10, 0, -1, vcc
	v_cmp_eq_u32_e32 vcc, s13, v11
	v_cmp_ne_u32_e64 s[0:1], 0, v19
	v_cndmask_b32_e32 v10, v20, v10, vcc
	v_cndmask_b32_e64 v19, v24, v22, s[0:1]
	v_cmp_ne_u32_e32 vcc, 0, v10
	v_cndmask_b32_e64 v11, v23, v21, s[0:1]
	v_cndmask_b32_e32 v10, v17, v19, vcc
	v_cndmask_b32_e32 v11, v16, v11, vcc
	v_xor_b32_e32 v16, s6, v18
	v_xor_b32_e32 v17, v10, v16
	;; [unrolled: 1-line block ×3, first 2 shown]
	v_sub_co_u32_e32 v10, vcc, v10, v16
	v_subb_co_u32_e32 v11, vcc, v17, v16, vcc
.LBB23_23:
	s_andn2_saveexec_b64 s[0:1], s[2:3]
	s_cbranch_execz .LBB23_25
; %bb.24:
	v_cvt_f32_u32_e32 v10, s40
	s_sub_i32 s2, 0, s40
	v_rcp_iflag_f32_e32 v10, v10
	v_mul_f32_e32 v10, 0x4f7ffffe, v10
	v_cvt_u32_f32_e32 v10, v10
	v_mul_lo_u32 v11, s2, v10
	v_mul_hi_u32 v11, v10, v11
	v_add_u32_e32 v10, v10, v11
	v_mul_hi_u32 v10, v14, v10
	v_mul_lo_u32 v11, v10, s40
	v_add_u32_e32 v16, 1, v10
	v_sub_u32_e32 v11, v14, v11
	v_subrev_u32_e32 v17, s40, v11
	v_cmp_le_u32_e32 vcc, s40, v11
	v_cndmask_b32_e32 v11, v11, v17, vcc
	v_cndmask_b32_e32 v10, v10, v16, vcc
	v_add_u32_e32 v16, 1, v10
	v_cmp_le_u32_e32 vcc, s40, v11
	v_cndmask_b32_e32 v10, v10, v16, vcc
	v_mov_b32_e32 v11, 0
.LBB23_25:
	s_or_b64 exec, exec, s[0:1]
	v_mul_lo_u32 v18, v7, s14
	v_mul_lo_u32 v19, v6, s15
	v_mad_u64_u32 v[16:17], s[0:1], v6, s14, 0
	v_mul_lo_u32 v7, v7, s22
	v_mul_lo_u32 v3, v3, s36
	v_add3_u32 v17, v17, v19, v18
	v_sub_co_u32_e32 v16, vcc, v12, v16
	v_subb_co_u32_e32 v17, vcc, v13, v17, vcc
	v_mov_b32_e32 v12, s8
	v_mov_b32_e32 v13, s9
	v_mul_lo_u32 v18, v16, s21
	v_mul_lo_u32 v17, v17, s20
	v_mad_u64_u32 v[12:13], s[0:1], v16, s20, v[12:13]
	v_mul_lo_u32 v1, v1, s38
	v_add3_u32 v13, v17, v13, v18
	v_mad_u64_u32 v[12:13], s[0:1], v6, s22, v[12:13]
	v_mul_lo_u32 v6, v6, s23
	v_add3_u32 v13, v7, v13, v6
	v_mad_u64_u32 v[6:7], s[0:1], v2, s36, v[12:13]
	v_mul_lo_u32 v2, v2, s37
	v_mul_lo_u32 v12, v10, s41
	v_add3_u32 v7, v3, v7, v2
	v_mad_u64_u32 v[2:3], s[0:1], v0, s38, v[6:7]
	v_mul_lo_u32 v0, v0, s39
	v_mul_lo_u32 v7, v11, s40
	v_add3_u32 v3, v1, v3, v0
	global_load_ushort v6, v[2:3], off
	v_mad_u64_u32 v[0:1], s[0:1], v10, s40, 0
	v_mov_b32_e32 v2, s10
	v_mov_b32_e32 v3, s11
	v_add3_u32 v1, v1, v12, v7
	v_sub_co_u32_e32 v0, vcc, v14, v0
	v_subb_co_u32_e32 v1, vcc, v15, v1, vcc
	v_mul_lo_u32 v7, v0, s47
	v_mul_lo_u32 v12, v1, s46
	v_mad_u64_u32 v[0:1], s[0:1], v0, s46, v[2:3]
	v_mul_lo_u32 v2, v10, s49
	v_mul_lo_u32 v3, v11, s48
	v_add3_u32 v1, v12, v1, v7
	v_mad_u64_u32 v[0:1], s[0:1], v10, s48, v[0:1]
	v_add3_u32 v1, v3, v1, v2
	v_mad_u64_u32 v[0:1], s[0:1], v4, s50, v[0:1]
	v_mul_lo_u32 v2, v4, s51
	v_mul_lo_u32 v3, v5, s50
	s_load_dwordx2 s[0:1], s[4:5], 0x80
	v_add3_u32 v1, v3, v1, v2
	s_waitcnt lgkmcnt(0)
	v_mad_u64_u32 v[0:1], s[2:3], v8, s0, v[0:1]
	v_mul_lo_u32 v2, v8, s1
	v_mul_lo_u32 v3, v9, s0
	v_add3_u32 v1, v3, v1, v2
	s_waitcnt vmcnt(0)
	v_cvt_f32_f16_e32 v4, v6
	global_store_dword v[0:1], v4, off
.LBB23_26:
	s_endpgm
	.section	.rodata,"a",@progbits
	.p2align	6, 0x0
	.amdhsa_kernel _ZL10cpy_scalarIXadL_ZL12cpy_1_scalarI6__halffEvPKcPcEEEvS3_S4_lllllllllllllll
		.amdhsa_group_segment_fixed_size 0
		.amdhsa_private_segment_fixed_size 0
		.amdhsa_kernarg_size 392
		.amdhsa_user_sgpr_count 6
		.amdhsa_user_sgpr_private_segment_buffer 1
		.amdhsa_user_sgpr_dispatch_ptr 0
		.amdhsa_user_sgpr_queue_ptr 0
		.amdhsa_user_sgpr_kernarg_segment_ptr 1
		.amdhsa_user_sgpr_dispatch_id 0
		.amdhsa_user_sgpr_flat_scratch_init 0
		.amdhsa_user_sgpr_private_segment_size 0
		.amdhsa_uses_dynamic_stack 0
		.amdhsa_system_sgpr_private_segment_wavefront_offset 0
		.amdhsa_system_sgpr_workgroup_id_x 1
		.amdhsa_system_sgpr_workgroup_id_y 0
		.amdhsa_system_sgpr_workgroup_id_z 0
		.amdhsa_system_sgpr_workgroup_info 0
		.amdhsa_system_vgpr_workitem_id 0
		.amdhsa_next_free_vgpr 25
		.amdhsa_next_free_sgpr 52
		.amdhsa_reserve_vcc 1
		.amdhsa_reserve_flat_scratch 0
		.amdhsa_float_round_mode_32 0
		.amdhsa_float_round_mode_16_64 0
		.amdhsa_float_denorm_mode_32 3
		.amdhsa_float_denorm_mode_16_64 3
		.amdhsa_dx10_clamp 1
		.amdhsa_ieee_mode 1
		.amdhsa_fp16_overflow 0
		.amdhsa_exception_fp_ieee_invalid_op 0
		.amdhsa_exception_fp_denorm_src 0
		.amdhsa_exception_fp_ieee_div_zero 0
		.amdhsa_exception_fp_ieee_overflow 0
		.amdhsa_exception_fp_ieee_underflow 0
		.amdhsa_exception_fp_ieee_inexact 0
		.amdhsa_exception_int_div_zero 0
	.end_amdhsa_kernel
	.section	.text._ZL10cpy_scalarIXadL_ZL12cpy_1_scalarI6__halffEvPKcPcEEEvS3_S4_lllllllllllllll,"axG",@progbits,_ZL10cpy_scalarIXadL_ZL12cpy_1_scalarI6__halffEvPKcPcEEEvS3_S4_lllllllllllllll,comdat
.Lfunc_end23:
	.size	_ZL10cpy_scalarIXadL_ZL12cpy_1_scalarI6__halffEvPKcPcEEEvS3_S4_lllllllllllllll, .Lfunc_end23-_ZL10cpy_scalarIXadL_ZL12cpy_1_scalarI6__halffEvPKcPcEEEvS3_S4_lllllllllllllll
                                        ; -- End function
	.set _ZL10cpy_scalarIXadL_ZL12cpy_1_scalarI6__halffEvPKcPcEEEvS3_S4_lllllllllllllll.num_vgpr, 25
	.set _ZL10cpy_scalarIXadL_ZL12cpy_1_scalarI6__halffEvPKcPcEEEvS3_S4_lllllllllllllll.num_agpr, 0
	.set _ZL10cpy_scalarIXadL_ZL12cpy_1_scalarI6__halffEvPKcPcEEEvS3_S4_lllllllllllllll.numbered_sgpr, 52
	.set _ZL10cpy_scalarIXadL_ZL12cpy_1_scalarI6__halffEvPKcPcEEEvS3_S4_lllllllllllllll.num_named_barrier, 0
	.set _ZL10cpy_scalarIXadL_ZL12cpy_1_scalarI6__halffEvPKcPcEEEvS3_S4_lllllllllllllll.private_seg_size, 0
	.set _ZL10cpy_scalarIXadL_ZL12cpy_1_scalarI6__halffEvPKcPcEEEvS3_S4_lllllllllllllll.uses_vcc, 1
	.set _ZL10cpy_scalarIXadL_ZL12cpy_1_scalarI6__halffEvPKcPcEEEvS3_S4_lllllllllllllll.uses_flat_scratch, 0
	.set _ZL10cpy_scalarIXadL_ZL12cpy_1_scalarI6__halffEvPKcPcEEEvS3_S4_lllllllllllllll.has_dyn_sized_stack, 0
	.set _ZL10cpy_scalarIXadL_ZL12cpy_1_scalarI6__halffEvPKcPcEEEvS3_S4_lllllllllllllll.has_recursion, 0
	.set _ZL10cpy_scalarIXadL_ZL12cpy_1_scalarI6__halffEvPKcPcEEEvS3_S4_lllllllllllllll.has_indirect_call, 0
	.section	.AMDGPU.csdata,"",@progbits
; Kernel info:
; codeLenInByte = 5200
; TotalNumSgprs: 56
; NumVgprs: 25
; ScratchSize: 0
; MemoryBound: 0
; FloatMode: 240
; IeeeMode: 1
; LDSByteSize: 0 bytes/workgroup (compile time only)
; SGPRBlocks: 6
; VGPRBlocks: 6
; NumSGPRsForWavesPerEU: 56
; NumVGPRsForWavesPerEU: 25
; Occupancy: 9
; WaveLimiterHint : 0
; COMPUTE_PGM_RSRC2:SCRATCH_EN: 0
; COMPUTE_PGM_RSRC2:USER_SGPR: 6
; COMPUTE_PGM_RSRC2:TRAP_HANDLER: 0
; COMPUTE_PGM_RSRC2:TGID_X_EN: 1
; COMPUTE_PGM_RSRC2:TGID_Y_EN: 0
; COMPUTE_PGM_RSRC2:TGID_Z_EN: 0
; COMPUTE_PGM_RSRC2:TIDIG_COMP_CNT: 0
	.section	.text._ZL10cpy_scalarIXadL_ZL12cpy_1_scalarI14__hip_bfloat16S1_EvPKcPcEEEvS3_S4_lllllllllllllll,"axG",@progbits,_ZL10cpy_scalarIXadL_ZL12cpy_1_scalarI14__hip_bfloat16S1_EvPKcPcEEEvS3_S4_lllllllllllllll,comdat
	.globl	_ZL10cpy_scalarIXadL_ZL12cpy_1_scalarI14__hip_bfloat16S1_EvPKcPcEEEvS3_S4_lllllllllllllll ; -- Begin function _ZL10cpy_scalarIXadL_ZL12cpy_1_scalarI14__hip_bfloat16S1_EvPKcPcEEEvS3_S4_lllllllllllllll
	.p2align	8
	.type	_ZL10cpy_scalarIXadL_ZL12cpy_1_scalarI14__hip_bfloat16S1_EvPKcPcEEEvS3_S4_lllllllllllllll,@function
_ZL10cpy_scalarIXadL_ZL12cpy_1_scalarI14__hip_bfloat16S1_EvPKcPcEEEvS3_S4_lllllllllllllll: ; @_ZL10cpy_scalarIXadL_ZL12cpy_1_scalarI14__hip_bfloat16S1_EvPKcPcEEEvS3_S4_lllllllllllllll
; %bb.0:
	s_load_dword s0, s[4:5], 0x94
	v_mov_b32_e32 v2, 0
	s_load_dwordx16 s[8:23], s[4:5], 0x0
	v_mov_b32_e32 v1, v2
	v_mov_b32_e32 v3, s6
	s_waitcnt lgkmcnt(0)
	s_and_b32 s0, s0, 0xffff
	v_mad_u64_u32 v[4:5], s[0:1], s0, v3, v[0:1]
	v_cmp_gt_i64_e32 vcc, s[12:13], v[4:5]
	s_and_saveexec_b64 s[0:1], vcc
	s_cbranch_execz .LBB24_26
; %bb.1:
	s_mul_i32 s0, s16, s15
	s_mul_hi_u32 s1, s16, s14
	s_add_i32 s0, s1, s0
	s_mul_i32 s1, s17, s14
	s_mul_i32 s16, s16, s14
	s_add_i32 s17, s0, s1
	s_mul_i32 s0, s16, s19
	s_mul_hi_u32 s1, s16, s18
	s_add_i32 s0, s1, s0
	s_mul_i32 s1, s17, s18
	s_add_i32 s19, s0, s1
	v_or_b32_e32 v3, s19, v5
	v_cmp_ne_u64_e32 vcc, 0, v[2:3]
	s_mul_i32 s18, s16, s18
	v_ashrrev_i32_e32 v10, 31, v5
                                        ; implicit-def: $vgpr0_vgpr1
	s_and_saveexec_b64 s[0:1], vcc
	s_xor_b64 s[2:3], exec, s[0:1]
	s_cbranch_execz .LBB24_3
; %bb.2:
	s_ashr_i32 s6, s19, 31
	s_add_u32 s0, s18, s6
	s_mov_b32 s7, s6
	s_addc_u32 s1, s19, s6
	s_xor_b64 s[12:13], s[0:1], s[6:7]
	v_cvt_f32_u32_e32 v0, s12
	v_cvt_f32_u32_e32 v1, s13
	s_sub_u32 s7, 0, s12
	s_subb_u32 s24, 0, s13
	v_madmk_f32 v0, v1, 0x4f800000, v0
	v_rcp_f32_e32 v0, v0
	v_mul_f32_e32 v0, 0x5f7ffffc, v0
	v_mul_f32_e32 v1, 0x2f800000, v0
	v_trunc_f32_e32 v1, v1
	v_madmk_f32 v0, v1, 0xcf800000, v0
	v_cvt_u32_f32_e32 v1, v1
	v_cvt_u32_f32_e32 v0, v0
	v_readfirstlane_b32 s25, v1
	v_readfirstlane_b32 s0, v0
	s_mul_i32 s1, s7, s25
	s_mul_hi_u32 s27, s7, s0
	s_mul_i32 s26, s24, s0
	s_add_i32 s1, s27, s1
	s_add_i32 s1, s1, s26
	s_mul_i32 s28, s7, s0
	s_mul_i32 s27, s0, s1
	s_mul_hi_u32 s29, s0, s28
	s_mul_hi_u32 s26, s0, s1
	s_add_u32 s27, s29, s27
	s_addc_u32 s26, 0, s26
	s_mul_hi_u32 s30, s25, s28
	s_mul_i32 s28, s25, s28
	s_add_u32 s27, s27, s28
	s_mul_hi_u32 s29, s25, s1
	s_addc_u32 s26, s26, s30
	s_addc_u32 s27, s29, 0
	s_mul_i32 s1, s25, s1
	s_add_u32 s1, s26, s1
	s_addc_u32 s26, 0, s27
	s_add_u32 s27, s0, s1
	s_cselect_b64 s[0:1], -1, 0
	s_cmp_lg_u64 s[0:1], 0
	s_addc_u32 s25, s25, s26
	s_mul_i32 s0, s7, s25
	s_mul_hi_u32 s1, s7, s27
	s_add_i32 s0, s1, s0
	s_mul_i32 s24, s24, s27
	s_add_i32 s0, s0, s24
	s_mul_i32 s7, s7, s27
	s_mul_hi_u32 s24, s25, s7
	s_mul_i32 s26, s25, s7
	s_mul_i32 s29, s27, s0
	s_mul_hi_u32 s7, s27, s7
	s_mul_hi_u32 s28, s27, s0
	s_add_u32 s7, s7, s29
	s_addc_u32 s28, 0, s28
	s_add_u32 s7, s7, s26
	s_mul_hi_u32 s1, s25, s0
	s_addc_u32 s7, s28, s24
	s_addc_u32 s1, s1, 0
	s_mul_i32 s0, s25, s0
	s_add_u32 s0, s7, s0
	s_addc_u32 s7, 0, s1
	s_add_u32 s24, s27, s0
	s_cselect_b64 s[0:1], -1, 0
	s_cmp_lg_u64 s[0:1], 0
	v_add_co_u32_e32 v0, vcc, v4, v10
	s_addc_u32 s7, s25, s7
	v_xor_b32_e32 v6, v0, v10
	v_mad_u64_u32 v[0:1], s[0:1], v6, s7, 0
	v_mul_hi_u32 v3, v6, s24
	v_addc_co_u32_e32 v2, vcc, v5, v10, vcc
	v_xor_b32_e32 v7, v2, v10
	v_add_co_u32_e32 v8, vcc, v3, v0
	v_addc_co_u32_e32 v9, vcc, 0, v1, vcc
	v_mad_u64_u32 v[0:1], s[0:1], v7, s24, 0
	v_mad_u64_u32 v[2:3], s[0:1], v7, s7, 0
	v_add_co_u32_e32 v0, vcc, v8, v0
	v_addc_co_u32_e32 v0, vcc, v9, v1, vcc
	v_addc_co_u32_e32 v1, vcc, 0, v3, vcc
	v_add_co_u32_e32 v2, vcc, v0, v2
	v_addc_co_u32_e32 v3, vcc, 0, v1, vcc
	v_mul_lo_u32 v8, s13, v2
	v_mul_lo_u32 v9, s12, v3
	v_mad_u64_u32 v[0:1], s[0:1], s12, v2, 0
	v_add3_u32 v1, v1, v9, v8
	v_sub_u32_e32 v8, v7, v1
	v_mov_b32_e32 v9, s13
	v_sub_co_u32_e32 v0, vcc, v6, v0
	v_subb_co_u32_e64 v6, s[0:1], v8, v9, vcc
	v_subrev_co_u32_e64 v8, s[0:1], s12, v0
	v_subbrev_co_u32_e64 v6, s[0:1], 0, v6, s[0:1]
	v_cmp_le_u32_e64 s[0:1], s13, v6
	v_cndmask_b32_e64 v9, 0, -1, s[0:1]
	v_cmp_le_u32_e64 s[0:1], s12, v8
	v_cndmask_b32_e64 v8, 0, -1, s[0:1]
	v_cmp_eq_u32_e64 s[0:1], s13, v6
	v_cndmask_b32_e64 v6, v9, v8, s[0:1]
	v_add_co_u32_e64 v8, s[0:1], 2, v2
	v_subb_co_u32_e32 v1, vcc, v7, v1, vcc
	v_addc_co_u32_e64 v9, s[0:1], 0, v3, s[0:1]
	v_cmp_le_u32_e32 vcc, s13, v1
	v_add_co_u32_e64 v11, s[0:1], 1, v2
	v_cndmask_b32_e64 v7, 0, -1, vcc
	v_cmp_le_u32_e32 vcc, s12, v0
	v_addc_co_u32_e64 v12, s[0:1], 0, v3, s[0:1]
	v_cndmask_b32_e64 v0, 0, -1, vcc
	v_cmp_eq_u32_e32 vcc, s13, v1
	v_cmp_ne_u32_e64 s[0:1], 0, v6
	v_cndmask_b32_e32 v0, v7, v0, vcc
	v_cndmask_b32_e64 v6, v12, v9, s[0:1]
	v_cmp_ne_u32_e32 vcc, 0, v0
	v_cndmask_b32_e64 v1, v11, v8, s[0:1]
	v_cndmask_b32_e32 v0, v3, v6, vcc
	v_cndmask_b32_e32 v1, v2, v1, vcc
	v_xor_b32_e32 v2, s6, v10
	v_xor_b32_e32 v3, v0, v2
	;; [unrolled: 1-line block ×3, first 2 shown]
	v_sub_co_u32_e32 v0, vcc, v0, v2
	v_subb_co_u32_e32 v1, vcc, v3, v2, vcc
.LBB24_3:
	s_andn2_saveexec_b64 s[0:1], s[2:3]
	s_cbranch_execz .LBB24_5
; %bb.4:
	v_cvt_f32_u32_e32 v0, s18
	s_sub_i32 s2, 0, s18
	v_rcp_iflag_f32_e32 v0, v0
	v_mul_f32_e32 v0, 0x4f7ffffe, v0
	v_cvt_u32_f32_e32 v0, v0
	v_mul_lo_u32 v1, s2, v0
	v_mul_hi_u32 v1, v0, v1
	v_add_u32_e32 v0, v0, v1
	v_mul_hi_u32 v0, v4, v0
	v_mul_lo_u32 v1, v0, s18
	v_add_u32_e32 v2, 1, v0
	v_sub_u32_e32 v1, v4, v1
	v_subrev_u32_e32 v3, s18, v1
	v_cmp_le_u32_e32 vcc, s18, v1
	v_cndmask_b32_e32 v1, v1, v3, vcc
	v_cndmask_b32_e32 v0, v0, v2, vcc
	v_add_u32_e32 v2, 1, v0
	v_cmp_le_u32_e32 vcc, s18, v1
	v_cndmask_b32_e32 v0, v0, v2, vcc
	v_mov_b32_e32 v1, 0
.LBB24_5:
	s_or_b64 exec, exec, s[0:1]
	v_mul_lo_u32 v6, s19, v0
	v_mul_lo_u32 v7, s18, v1
	v_mad_u64_u32 v[2:3], s[0:1], s18, v0, 0
	v_add3_u32 v3, v3, v7, v6
	v_sub_co_u32_e32 v6, vcc, v4, v2
	v_subb_co_u32_e32 v7, vcc, v5, v3, vcc
	v_or_b32_e32 v3, s17, v7
	v_mov_b32_e32 v2, 0
	v_cmp_ne_u64_e32 vcc, 0, v[2:3]
                                        ; implicit-def: $vgpr2_vgpr3
	s_and_saveexec_b64 s[0:1], vcc
	s_xor_b64 s[2:3], exec, s[0:1]
	s_cbranch_execz .LBB24_7
; %bb.6:
	s_ashr_i32 s6, s17, 31
	s_add_u32 s0, s16, s6
	s_mov_b32 s7, s6
	s_addc_u32 s1, s17, s6
	s_xor_b64 s[12:13], s[0:1], s[6:7]
	v_cvt_f32_u32_e32 v2, s12
	v_cvt_f32_u32_e32 v3, s13
	s_sub_u32 s7, 0, s12
	s_subb_u32 s18, 0, s13
	v_ashrrev_i32_e32 v11, 31, v7
	v_madmk_f32 v2, v3, 0x4f800000, v2
	v_rcp_f32_e32 v2, v2
	v_mul_f32_e32 v2, 0x5f7ffffc, v2
	v_mul_f32_e32 v3, 0x2f800000, v2
	v_trunc_f32_e32 v3, v3
	v_madmk_f32 v2, v3, 0xcf800000, v2
	v_cvt_u32_f32_e32 v3, v3
	v_cvt_u32_f32_e32 v2, v2
	v_readfirstlane_b32 s19, v3
	v_readfirstlane_b32 s0, v2
	s_mul_i32 s1, s7, s19
	s_mul_hi_u32 s25, s7, s0
	s_mul_i32 s24, s18, s0
	s_add_i32 s1, s25, s1
	s_add_i32 s1, s1, s24
	s_mul_i32 s26, s7, s0
	s_mul_i32 s25, s0, s1
	s_mul_hi_u32 s27, s0, s26
	s_mul_hi_u32 s24, s0, s1
	s_add_u32 s25, s27, s25
	s_addc_u32 s24, 0, s24
	s_mul_hi_u32 s28, s19, s26
	s_mul_i32 s26, s19, s26
	s_add_u32 s25, s25, s26
	s_mul_hi_u32 s27, s19, s1
	s_addc_u32 s24, s24, s28
	s_addc_u32 s25, s27, 0
	s_mul_i32 s1, s19, s1
	s_add_u32 s1, s24, s1
	s_addc_u32 s24, 0, s25
	s_add_u32 s25, s0, s1
	s_cselect_b64 s[0:1], -1, 0
	s_cmp_lg_u64 s[0:1], 0
	s_addc_u32 s19, s19, s24
	s_mul_i32 s0, s7, s19
	s_mul_hi_u32 s1, s7, s25
	s_add_i32 s0, s1, s0
	s_mul_i32 s18, s18, s25
	s_add_i32 s0, s0, s18
	s_mul_i32 s7, s7, s25
	s_mul_hi_u32 s18, s19, s7
	s_mul_i32 s24, s19, s7
	s_mul_i32 s27, s25, s0
	s_mul_hi_u32 s7, s25, s7
	s_mul_hi_u32 s26, s25, s0
	s_add_u32 s7, s7, s27
	s_addc_u32 s26, 0, s26
	s_add_u32 s7, s7, s24
	s_mul_hi_u32 s1, s19, s0
	s_addc_u32 s7, s26, s18
	s_addc_u32 s1, s1, 0
	s_mul_i32 s0, s19, s0
	s_add_u32 s0, s7, s0
	s_addc_u32 s7, 0, s1
	s_add_u32 s18, s25, s0
	s_cselect_b64 s[0:1], -1, 0
	s_cmp_lg_u64 s[0:1], 0
	v_add_co_u32_e32 v2, vcc, v6, v11
	s_addc_u32 s7, s19, s7
	v_xor_b32_e32 v12, v2, v11
	v_mad_u64_u32 v[2:3], s[0:1], v12, s7, 0
	v_mul_hi_u32 v9, v12, s18
	v_addc_co_u32_e32 v8, vcc, v7, v11, vcc
	v_xor_b32_e32 v13, v8, v11
	v_add_co_u32_e32 v14, vcc, v9, v2
	v_addc_co_u32_e32 v15, vcc, 0, v3, vcc
	v_mad_u64_u32 v[2:3], s[0:1], v13, s18, 0
	v_mad_u64_u32 v[8:9], s[0:1], v13, s7, 0
	v_add_co_u32_e32 v2, vcc, v14, v2
	v_addc_co_u32_e32 v2, vcc, v15, v3, vcc
	v_addc_co_u32_e32 v3, vcc, 0, v9, vcc
	v_add_co_u32_e32 v8, vcc, v2, v8
	v_addc_co_u32_e32 v9, vcc, 0, v3, vcc
	v_mul_lo_u32 v14, s13, v8
	v_mul_lo_u32 v15, s12, v9
	v_mad_u64_u32 v[2:3], s[0:1], s12, v8, 0
	v_add3_u32 v3, v3, v15, v14
	v_sub_u32_e32 v14, v13, v3
	v_mov_b32_e32 v15, s13
	v_sub_co_u32_e32 v2, vcc, v12, v2
	v_subb_co_u32_e64 v12, s[0:1], v14, v15, vcc
	v_subrev_co_u32_e64 v14, s[0:1], s12, v2
	v_subbrev_co_u32_e64 v12, s[0:1], 0, v12, s[0:1]
	v_cmp_le_u32_e64 s[0:1], s13, v12
	v_cndmask_b32_e64 v15, 0, -1, s[0:1]
	v_cmp_le_u32_e64 s[0:1], s12, v14
	v_cndmask_b32_e64 v14, 0, -1, s[0:1]
	v_cmp_eq_u32_e64 s[0:1], s13, v12
	v_cndmask_b32_e64 v12, v15, v14, s[0:1]
	v_add_co_u32_e64 v14, s[0:1], 2, v8
	v_subb_co_u32_e32 v3, vcc, v13, v3, vcc
	v_addc_co_u32_e64 v15, s[0:1], 0, v9, s[0:1]
	v_cmp_le_u32_e32 vcc, s13, v3
	v_add_co_u32_e64 v16, s[0:1], 1, v8
	v_cndmask_b32_e64 v13, 0, -1, vcc
	v_cmp_le_u32_e32 vcc, s12, v2
	v_addc_co_u32_e64 v17, s[0:1], 0, v9, s[0:1]
	v_cndmask_b32_e64 v2, 0, -1, vcc
	v_cmp_eq_u32_e32 vcc, s13, v3
	v_cmp_ne_u32_e64 s[0:1], 0, v12
	v_cndmask_b32_e32 v2, v13, v2, vcc
	v_cndmask_b32_e64 v12, v17, v15, s[0:1]
	v_cmp_ne_u32_e32 vcc, 0, v2
	v_cndmask_b32_e64 v3, v16, v14, s[0:1]
	v_cndmask_b32_e32 v2, v9, v12, vcc
	v_cndmask_b32_e32 v3, v8, v3, vcc
	v_xor_b32_e32 v8, s6, v11
	v_xor_b32_e32 v9, v2, v8
	;; [unrolled: 1-line block ×3, first 2 shown]
	v_sub_co_u32_e32 v2, vcc, v2, v8
	v_subb_co_u32_e32 v3, vcc, v9, v8, vcc
.LBB24_7:
	s_andn2_saveexec_b64 s[0:1], s[2:3]
	s_cbranch_execz .LBB24_9
; %bb.8:
	v_cvt_f32_u32_e32 v2, s16
	s_sub_i32 s2, 0, s16
	v_rcp_iflag_f32_e32 v2, v2
	v_mul_f32_e32 v2, 0x4f7ffffe, v2
	v_cvt_u32_f32_e32 v2, v2
	v_mul_lo_u32 v3, s2, v2
	v_mul_hi_u32 v3, v2, v3
	v_add_u32_e32 v2, v2, v3
	v_mul_hi_u32 v2, v6, v2
	v_mul_lo_u32 v3, v2, s16
	v_add_u32_e32 v8, 1, v2
	v_sub_u32_e32 v3, v6, v3
	v_subrev_u32_e32 v9, s16, v3
	v_cmp_le_u32_e32 vcc, s16, v3
	v_cndmask_b32_e32 v3, v3, v9, vcc
	v_cndmask_b32_e32 v2, v2, v8, vcc
	v_add_u32_e32 v8, 1, v2
	v_cmp_le_u32_e32 vcc, s16, v3
	v_cndmask_b32_e32 v2, v2, v8, vcc
	v_mov_b32_e32 v3, 0
.LBB24_9:
	s_or_b64 exec, exec, s[0:1]
	v_mul_lo_u32 v11, s17, v2
	v_mul_lo_u32 v12, s16, v3
	v_mad_u64_u32 v[8:9], s[0:1], s16, v2, 0
	v_add3_u32 v9, v9, v12, v11
	v_sub_co_u32_e32 v12, vcc, v6, v8
	v_subb_co_u32_e32 v13, vcc, v7, v9, vcc
	v_or_b32_e32 v7, s15, v13
	v_mov_b32_e32 v6, 0
	v_cmp_ne_u64_e32 vcc, 0, v[6:7]
                                        ; implicit-def: $vgpr6_vgpr7
	s_and_saveexec_b64 s[0:1], vcc
	s_xor_b64 s[2:3], exec, s[0:1]
	s_cbranch_execz .LBB24_11
; %bb.10:
	s_ashr_i32 s6, s15, 31
	s_add_u32 s0, s14, s6
	s_mov_b32 s7, s6
	s_addc_u32 s1, s15, s6
	s_xor_b64 s[12:13], s[0:1], s[6:7]
	v_cvt_f32_u32_e32 v6, s12
	v_cvt_f32_u32_e32 v7, s13
	s_sub_u32 s7, 0, s12
	s_subb_u32 s16, 0, s13
	v_ashrrev_i32_e32 v11, 31, v13
	v_madmk_f32 v6, v7, 0x4f800000, v6
	v_rcp_f32_e32 v6, v6
	v_mul_f32_e32 v6, 0x5f7ffffc, v6
	v_mul_f32_e32 v7, 0x2f800000, v6
	v_trunc_f32_e32 v7, v7
	v_madmk_f32 v6, v7, 0xcf800000, v6
	v_cvt_u32_f32_e32 v7, v7
	v_cvt_u32_f32_e32 v6, v6
	v_readfirstlane_b32 s17, v7
	v_readfirstlane_b32 s0, v6
	s_mul_i32 s1, s7, s17
	s_mul_hi_u32 s19, s7, s0
	s_mul_i32 s18, s16, s0
	s_add_i32 s1, s19, s1
	s_add_i32 s1, s1, s18
	s_mul_i32 s24, s7, s0
	s_mul_i32 s19, s0, s1
	s_mul_hi_u32 s25, s0, s24
	s_mul_hi_u32 s18, s0, s1
	s_add_u32 s19, s25, s19
	s_addc_u32 s18, 0, s18
	s_mul_hi_u32 s26, s17, s24
	s_mul_i32 s24, s17, s24
	s_add_u32 s19, s19, s24
	s_mul_hi_u32 s25, s17, s1
	s_addc_u32 s18, s18, s26
	s_addc_u32 s19, s25, 0
	s_mul_i32 s1, s17, s1
	s_add_u32 s1, s18, s1
	s_addc_u32 s18, 0, s19
	s_add_u32 s19, s0, s1
	s_cselect_b64 s[0:1], -1, 0
	s_cmp_lg_u64 s[0:1], 0
	s_addc_u32 s17, s17, s18
	s_mul_i32 s0, s7, s17
	s_mul_hi_u32 s1, s7, s19
	s_add_i32 s0, s1, s0
	s_mul_i32 s16, s16, s19
	s_add_i32 s0, s0, s16
	s_mul_i32 s7, s7, s19
	s_mul_hi_u32 s16, s17, s7
	s_mul_i32 s18, s17, s7
	s_mul_i32 s25, s19, s0
	s_mul_hi_u32 s7, s19, s7
	s_mul_hi_u32 s24, s19, s0
	s_add_u32 s7, s7, s25
	s_addc_u32 s24, 0, s24
	s_add_u32 s7, s7, s18
	s_mul_hi_u32 s1, s17, s0
	s_addc_u32 s7, s24, s16
	s_addc_u32 s1, s1, 0
	s_mul_i32 s0, s17, s0
	s_add_u32 s0, s7, s0
	s_addc_u32 s7, 0, s1
	s_add_u32 s16, s19, s0
	s_cselect_b64 s[0:1], -1, 0
	s_cmp_lg_u64 s[0:1], 0
	v_add_co_u32_e32 v6, vcc, v12, v11
	s_addc_u32 s7, s17, s7
	v_xor_b32_e32 v14, v6, v11
	v_mad_u64_u32 v[6:7], s[0:1], v14, s7, 0
	v_mul_hi_u32 v9, v14, s16
	v_addc_co_u32_e32 v8, vcc, v13, v11, vcc
	v_xor_b32_e32 v15, v8, v11
	v_add_co_u32_e32 v16, vcc, v9, v6
	v_addc_co_u32_e32 v17, vcc, 0, v7, vcc
	v_mad_u64_u32 v[6:7], s[0:1], v15, s16, 0
	v_mad_u64_u32 v[8:9], s[0:1], v15, s7, 0
	v_add_co_u32_e32 v6, vcc, v16, v6
	v_addc_co_u32_e32 v6, vcc, v17, v7, vcc
	v_addc_co_u32_e32 v7, vcc, 0, v9, vcc
	v_add_co_u32_e32 v8, vcc, v6, v8
	v_addc_co_u32_e32 v9, vcc, 0, v7, vcc
	v_mul_lo_u32 v16, s13, v8
	v_mul_lo_u32 v17, s12, v9
	v_mad_u64_u32 v[6:7], s[0:1], s12, v8, 0
	v_add3_u32 v7, v7, v17, v16
	v_sub_u32_e32 v16, v15, v7
	v_mov_b32_e32 v17, s13
	v_sub_co_u32_e32 v6, vcc, v14, v6
	v_subb_co_u32_e64 v14, s[0:1], v16, v17, vcc
	v_subrev_co_u32_e64 v16, s[0:1], s12, v6
	v_subbrev_co_u32_e64 v14, s[0:1], 0, v14, s[0:1]
	v_cmp_le_u32_e64 s[0:1], s13, v14
	v_cndmask_b32_e64 v17, 0, -1, s[0:1]
	v_cmp_le_u32_e64 s[0:1], s12, v16
	v_cndmask_b32_e64 v16, 0, -1, s[0:1]
	v_cmp_eq_u32_e64 s[0:1], s13, v14
	v_cndmask_b32_e64 v14, v17, v16, s[0:1]
	v_add_co_u32_e64 v16, s[0:1], 2, v8
	v_subb_co_u32_e32 v7, vcc, v15, v7, vcc
	v_addc_co_u32_e64 v17, s[0:1], 0, v9, s[0:1]
	v_cmp_le_u32_e32 vcc, s13, v7
	v_add_co_u32_e64 v18, s[0:1], 1, v8
	v_cndmask_b32_e64 v15, 0, -1, vcc
	v_cmp_le_u32_e32 vcc, s12, v6
	v_addc_co_u32_e64 v19, s[0:1], 0, v9, s[0:1]
	v_cndmask_b32_e64 v6, 0, -1, vcc
	v_cmp_eq_u32_e32 vcc, s13, v7
	v_cmp_ne_u32_e64 s[0:1], 0, v14
	v_cndmask_b32_e32 v6, v15, v6, vcc
	v_cndmask_b32_e64 v14, v19, v17, s[0:1]
	v_cmp_ne_u32_e32 vcc, 0, v6
	v_cndmask_b32_e64 v7, v18, v16, s[0:1]
	v_cndmask_b32_e32 v6, v9, v14, vcc
	v_cndmask_b32_e32 v7, v8, v7, vcc
	v_xor_b32_e32 v8, s6, v11
	v_xor_b32_e32 v9, v6, v8
	;; [unrolled: 1-line block ×3, first 2 shown]
	v_sub_co_u32_e32 v6, vcc, v6, v8
	v_subb_co_u32_e32 v7, vcc, v9, v8, vcc
.LBB24_11:
	s_andn2_saveexec_b64 s[0:1], s[2:3]
	s_cbranch_execz .LBB24_13
; %bb.12:
	v_cvt_f32_u32_e32 v6, s14
	s_sub_i32 s2, 0, s14
	v_rcp_iflag_f32_e32 v6, v6
	v_mul_f32_e32 v6, 0x4f7ffffe, v6
	v_cvt_u32_f32_e32 v6, v6
	v_mul_lo_u32 v7, s2, v6
	v_mul_hi_u32 v7, v6, v7
	v_add_u32_e32 v6, v6, v7
	v_mul_hi_u32 v6, v12, v6
	v_mul_lo_u32 v7, v6, s14
	v_add_u32_e32 v8, 1, v6
	v_sub_u32_e32 v7, v12, v7
	v_subrev_u32_e32 v9, s14, v7
	v_cmp_le_u32_e32 vcc, s14, v7
	v_cndmask_b32_e32 v7, v7, v9, vcc
	v_cndmask_b32_e32 v6, v6, v8, vcc
	v_add_u32_e32 v8, 1, v6
	v_cmp_le_u32_e32 vcc, s14, v7
	v_cndmask_b32_e32 v6, v6, v8, vcc
	v_mov_b32_e32 v7, 0
.LBB24_13:
	s_or_b64 exec, exec, s[0:1]
	s_load_dwordx16 s[36:51], s[4:5], 0x40
	v_mov_b32_e32 v8, 0
	s_waitcnt lgkmcnt(0)
	s_mul_i32 s0, s42, s41
	s_mul_hi_u32 s1, s42, s40
	s_mul_i32 s2, s43, s40
	s_mul_i32 s16, s42, s40
	s_add_i32 s17, s1, s0
	s_mul_i32 s0, s16, s45
	s_add_i32 s17, s17, s2
	s_mul_hi_u32 s1, s16, s44
	s_add_i32 s0, s1, s0
	s_mul_i32 s1, s17, s44
	s_add_i32 s18, s0, s1
	v_or_b32_e32 v9, s18, v5
	v_cmp_ne_u64_e32 vcc, 0, v[8:9]
	s_mul_i32 s19, s16, s44
                                        ; implicit-def: $vgpr8_vgpr9
	s_and_saveexec_b64 s[0:1], vcc
	s_xor_b64 s[2:3], exec, s[0:1]
	s_cbranch_execz .LBB24_15
; %bb.14:
	s_ashr_i32 s6, s18, 31
	s_add_u32 s0, s19, s6
	s_mov_b32 s7, s6
	s_addc_u32 s1, s18, s6
	s_xor_b64 s[12:13], s[0:1], s[6:7]
	v_cvt_f32_u32_e32 v8, s12
	v_cvt_f32_u32_e32 v9, s13
	s_sub_u32 s7, 0, s12
	s_subb_u32 s24, 0, s13
	v_madmk_f32 v8, v9, 0x4f800000, v8
	v_rcp_f32_e32 v8, v8
	v_mul_f32_e32 v8, 0x5f7ffffc, v8
	v_mul_f32_e32 v9, 0x2f800000, v8
	v_trunc_f32_e32 v9, v9
	v_madmk_f32 v8, v9, 0xcf800000, v8
	v_cvt_u32_f32_e32 v9, v9
	v_cvt_u32_f32_e32 v8, v8
	v_readfirstlane_b32 s25, v9
	v_readfirstlane_b32 s0, v8
	s_mul_i32 s1, s7, s25
	s_mul_hi_u32 s27, s7, s0
	s_mul_i32 s26, s24, s0
	s_add_i32 s1, s27, s1
	s_add_i32 s1, s1, s26
	s_mul_i32 s28, s7, s0
	s_mul_i32 s27, s0, s1
	s_mul_hi_u32 s29, s0, s28
	s_mul_hi_u32 s26, s0, s1
	s_add_u32 s27, s29, s27
	s_addc_u32 s26, 0, s26
	s_mul_hi_u32 s30, s25, s28
	s_mul_i32 s28, s25, s28
	s_add_u32 s27, s27, s28
	s_mul_hi_u32 s29, s25, s1
	s_addc_u32 s26, s26, s30
	s_addc_u32 s27, s29, 0
	s_mul_i32 s1, s25, s1
	s_add_u32 s1, s26, s1
	s_addc_u32 s26, 0, s27
	s_add_u32 s27, s0, s1
	s_cselect_b64 s[0:1], -1, 0
	s_cmp_lg_u64 s[0:1], 0
	s_addc_u32 s25, s25, s26
	s_mul_i32 s0, s7, s25
	s_mul_hi_u32 s1, s7, s27
	s_add_i32 s0, s1, s0
	s_mul_i32 s24, s24, s27
	s_add_i32 s0, s0, s24
	s_mul_i32 s7, s7, s27
	s_mul_hi_u32 s24, s25, s7
	s_mul_i32 s26, s25, s7
	s_mul_i32 s29, s27, s0
	s_mul_hi_u32 s7, s27, s7
	s_mul_hi_u32 s28, s27, s0
	s_add_u32 s7, s7, s29
	s_addc_u32 s28, 0, s28
	s_add_u32 s7, s7, s26
	s_mul_hi_u32 s1, s25, s0
	s_addc_u32 s7, s28, s24
	s_addc_u32 s1, s1, 0
	s_mul_i32 s0, s25, s0
	s_add_u32 s0, s7, s0
	s_addc_u32 s7, 0, s1
	s_add_u32 s24, s27, s0
	s_cselect_b64 s[0:1], -1, 0
	s_cmp_lg_u64 s[0:1], 0
	v_add_co_u32_e32 v8, vcc, v4, v10
	s_addc_u32 s7, s25, s7
	v_xor_b32_e32 v16, v8, v10
	v_mad_u64_u32 v[8:9], s[0:1], v16, s7, 0
	v_mul_hi_u32 v14, v16, s24
	v_addc_co_u32_e32 v11, vcc, v5, v10, vcc
	v_xor_b32_e32 v11, v11, v10
	v_add_co_u32_e32 v17, vcc, v14, v8
	v_addc_co_u32_e32 v18, vcc, 0, v9, vcc
	v_mad_u64_u32 v[8:9], s[0:1], v11, s24, 0
	v_mad_u64_u32 v[14:15], s[0:1], v11, s7, 0
	v_add_co_u32_e32 v8, vcc, v17, v8
	v_addc_co_u32_e32 v8, vcc, v18, v9, vcc
	v_addc_co_u32_e32 v9, vcc, 0, v15, vcc
	v_add_co_u32_e32 v14, vcc, v8, v14
	v_addc_co_u32_e32 v15, vcc, 0, v9, vcc
	v_mul_lo_u32 v17, s13, v14
	v_mul_lo_u32 v18, s12, v15
	v_mad_u64_u32 v[8:9], s[0:1], s12, v14, 0
	v_xor_b32_e32 v10, s6, v10
	v_add3_u32 v9, v9, v18, v17
	v_sub_u32_e32 v17, v11, v9
	v_mov_b32_e32 v18, s13
	v_sub_co_u32_e32 v8, vcc, v16, v8
	v_subb_co_u32_e64 v16, s[0:1], v17, v18, vcc
	v_subrev_co_u32_e64 v17, s[0:1], s12, v8
	v_subbrev_co_u32_e64 v16, s[0:1], 0, v16, s[0:1]
	v_cmp_le_u32_e64 s[0:1], s13, v16
	v_cndmask_b32_e64 v18, 0, -1, s[0:1]
	v_cmp_le_u32_e64 s[0:1], s12, v17
	v_cndmask_b32_e64 v17, 0, -1, s[0:1]
	v_cmp_eq_u32_e64 s[0:1], s13, v16
	v_cndmask_b32_e64 v16, v18, v17, s[0:1]
	v_add_co_u32_e64 v17, s[0:1], 2, v14
	v_subb_co_u32_e32 v9, vcc, v11, v9, vcc
	v_addc_co_u32_e64 v18, s[0:1], 0, v15, s[0:1]
	v_cmp_le_u32_e32 vcc, s13, v9
	v_add_co_u32_e64 v19, s[0:1], 1, v14
	v_cndmask_b32_e64 v11, 0, -1, vcc
	v_cmp_le_u32_e32 vcc, s12, v8
	v_addc_co_u32_e64 v20, s[0:1], 0, v15, s[0:1]
	v_cndmask_b32_e64 v8, 0, -1, vcc
	v_cmp_eq_u32_e32 vcc, s13, v9
	v_cmp_ne_u32_e64 s[0:1], 0, v16
	v_cndmask_b32_e32 v8, v11, v8, vcc
	v_cndmask_b32_e64 v16, v20, v18, s[0:1]
	v_cmp_ne_u32_e32 vcc, 0, v8
	v_cndmask_b32_e64 v9, v19, v17, s[0:1]
	v_cndmask_b32_e32 v8, v15, v16, vcc
	v_cndmask_b32_e32 v9, v14, v9, vcc
	v_xor_b32_e32 v11, v8, v10
	v_xor_b32_e32 v8, v9, v10
	v_sub_co_u32_e32 v8, vcc, v8, v10
	v_subb_co_u32_e32 v9, vcc, v11, v10, vcc
.LBB24_15:
	s_andn2_saveexec_b64 s[0:1], s[2:3]
	s_cbranch_execz .LBB24_17
; %bb.16:
	v_cvt_f32_u32_e32 v8, s19
	s_sub_i32 s2, 0, s19
	v_rcp_iflag_f32_e32 v8, v8
	v_mul_f32_e32 v8, 0x4f7ffffe, v8
	v_cvt_u32_f32_e32 v8, v8
	v_mul_lo_u32 v9, s2, v8
	v_mul_hi_u32 v9, v8, v9
	v_add_u32_e32 v8, v8, v9
	v_mul_hi_u32 v8, v4, v8
	v_mul_lo_u32 v9, v8, s19
	v_add_u32_e32 v10, 1, v8
	v_sub_u32_e32 v9, v4, v9
	v_subrev_u32_e32 v11, s19, v9
	v_cmp_le_u32_e32 vcc, s19, v9
	v_cndmask_b32_e32 v9, v9, v11, vcc
	v_cndmask_b32_e32 v8, v8, v10, vcc
	v_add_u32_e32 v10, 1, v8
	v_cmp_le_u32_e32 vcc, s19, v9
	v_cndmask_b32_e32 v8, v8, v10, vcc
	v_mov_b32_e32 v9, 0
.LBB24_17:
	s_or_b64 exec, exec, s[0:1]
	v_mul_lo_u32 v14, s18, v8
	v_mul_lo_u32 v15, s19, v9
	v_mad_u64_u32 v[10:11], s[0:1], s19, v8, 0
	v_add3_u32 v11, v11, v15, v14
	v_sub_co_u32_e32 v10, vcc, v4, v10
	v_subb_co_u32_e32 v11, vcc, v5, v11, vcc
	v_or_b32_e32 v5, s17, v11
	v_mov_b32_e32 v4, 0
	v_cmp_ne_u64_e32 vcc, 0, v[4:5]
                                        ; implicit-def: $vgpr4_vgpr5
	s_and_saveexec_b64 s[0:1], vcc
	s_xor_b64 s[2:3], exec, s[0:1]
	s_cbranch_execz .LBB24_19
; %bb.18:
	s_ashr_i32 s6, s17, 31
	s_add_u32 s0, s16, s6
	s_mov_b32 s7, s6
	s_addc_u32 s1, s17, s6
	s_xor_b64 s[12:13], s[0:1], s[6:7]
	v_cvt_f32_u32_e32 v4, s12
	v_cvt_f32_u32_e32 v5, s13
	s_sub_u32 s7, 0, s12
	s_subb_u32 s18, 0, s13
	v_ashrrev_i32_e32 v16, 31, v11
	v_madmk_f32 v4, v5, 0x4f800000, v4
	v_rcp_f32_e32 v4, v4
	v_mul_f32_e32 v4, 0x5f7ffffc, v4
	v_mul_f32_e32 v5, 0x2f800000, v4
	v_trunc_f32_e32 v5, v5
	v_madmk_f32 v4, v5, 0xcf800000, v4
	v_cvt_u32_f32_e32 v5, v5
	v_cvt_u32_f32_e32 v4, v4
	v_readfirstlane_b32 s19, v5
	v_readfirstlane_b32 s0, v4
	s_mul_i32 s1, s7, s19
	s_mul_hi_u32 s25, s7, s0
	s_mul_i32 s24, s18, s0
	s_add_i32 s1, s25, s1
	s_add_i32 s1, s1, s24
	s_mul_i32 s26, s7, s0
	s_mul_i32 s25, s0, s1
	s_mul_hi_u32 s27, s0, s26
	s_mul_hi_u32 s24, s0, s1
	s_add_u32 s25, s27, s25
	s_addc_u32 s24, 0, s24
	s_mul_hi_u32 s28, s19, s26
	s_mul_i32 s26, s19, s26
	s_add_u32 s25, s25, s26
	s_mul_hi_u32 s27, s19, s1
	s_addc_u32 s24, s24, s28
	s_addc_u32 s25, s27, 0
	s_mul_i32 s1, s19, s1
	s_add_u32 s1, s24, s1
	s_addc_u32 s24, 0, s25
	s_add_u32 s25, s0, s1
	s_cselect_b64 s[0:1], -1, 0
	s_cmp_lg_u64 s[0:1], 0
	s_addc_u32 s19, s19, s24
	s_mul_i32 s0, s7, s19
	s_mul_hi_u32 s1, s7, s25
	s_add_i32 s0, s1, s0
	s_mul_i32 s18, s18, s25
	s_add_i32 s0, s0, s18
	s_mul_i32 s7, s7, s25
	s_mul_hi_u32 s18, s19, s7
	s_mul_i32 s24, s19, s7
	s_mul_i32 s27, s25, s0
	s_mul_hi_u32 s7, s25, s7
	s_mul_hi_u32 s26, s25, s0
	s_add_u32 s7, s7, s27
	s_addc_u32 s26, 0, s26
	s_add_u32 s7, s7, s24
	s_mul_hi_u32 s1, s19, s0
	s_addc_u32 s7, s26, s18
	s_addc_u32 s1, s1, 0
	s_mul_i32 s0, s19, s0
	s_add_u32 s0, s7, s0
	s_addc_u32 s7, 0, s1
	s_add_u32 s18, s25, s0
	s_cselect_b64 s[0:1], -1, 0
	s_cmp_lg_u64 s[0:1], 0
	v_add_co_u32_e32 v4, vcc, v10, v16
	s_addc_u32 s7, s19, s7
	v_xor_b32_e32 v17, v4, v16
	v_mad_u64_u32 v[4:5], s[0:1], v17, s7, 0
	v_mul_hi_u32 v15, v17, s18
	v_addc_co_u32_e32 v14, vcc, v11, v16, vcc
	v_xor_b32_e32 v18, v14, v16
	v_add_co_u32_e32 v19, vcc, v15, v4
	v_addc_co_u32_e32 v20, vcc, 0, v5, vcc
	v_mad_u64_u32 v[4:5], s[0:1], v18, s18, 0
	v_mad_u64_u32 v[14:15], s[0:1], v18, s7, 0
	v_add_co_u32_e32 v4, vcc, v19, v4
	v_addc_co_u32_e32 v4, vcc, v20, v5, vcc
	v_addc_co_u32_e32 v5, vcc, 0, v15, vcc
	v_add_co_u32_e32 v14, vcc, v4, v14
	v_addc_co_u32_e32 v15, vcc, 0, v5, vcc
	v_mul_lo_u32 v19, s13, v14
	v_mul_lo_u32 v20, s12, v15
	v_mad_u64_u32 v[4:5], s[0:1], s12, v14, 0
	v_add3_u32 v5, v5, v20, v19
	v_sub_u32_e32 v19, v18, v5
	v_mov_b32_e32 v20, s13
	v_sub_co_u32_e32 v4, vcc, v17, v4
	v_subb_co_u32_e64 v17, s[0:1], v19, v20, vcc
	v_subrev_co_u32_e64 v19, s[0:1], s12, v4
	v_subbrev_co_u32_e64 v17, s[0:1], 0, v17, s[0:1]
	v_cmp_le_u32_e64 s[0:1], s13, v17
	v_cndmask_b32_e64 v20, 0, -1, s[0:1]
	v_cmp_le_u32_e64 s[0:1], s12, v19
	v_cndmask_b32_e64 v19, 0, -1, s[0:1]
	v_cmp_eq_u32_e64 s[0:1], s13, v17
	v_cndmask_b32_e64 v17, v20, v19, s[0:1]
	v_add_co_u32_e64 v19, s[0:1], 2, v14
	v_subb_co_u32_e32 v5, vcc, v18, v5, vcc
	v_addc_co_u32_e64 v20, s[0:1], 0, v15, s[0:1]
	v_cmp_le_u32_e32 vcc, s13, v5
	v_add_co_u32_e64 v21, s[0:1], 1, v14
	v_cndmask_b32_e64 v18, 0, -1, vcc
	v_cmp_le_u32_e32 vcc, s12, v4
	v_addc_co_u32_e64 v22, s[0:1], 0, v15, s[0:1]
	v_cndmask_b32_e64 v4, 0, -1, vcc
	v_cmp_eq_u32_e32 vcc, s13, v5
	v_cmp_ne_u32_e64 s[0:1], 0, v17
	v_cndmask_b32_e32 v4, v18, v4, vcc
	v_cndmask_b32_e64 v17, v22, v20, s[0:1]
	v_cmp_ne_u32_e32 vcc, 0, v4
	v_cndmask_b32_e64 v5, v21, v19, s[0:1]
	v_cndmask_b32_e32 v4, v15, v17, vcc
	v_cndmask_b32_e32 v5, v14, v5, vcc
	v_xor_b32_e32 v14, s6, v16
	v_xor_b32_e32 v15, v4, v14
	;; [unrolled: 1-line block ×3, first 2 shown]
	v_sub_co_u32_e32 v4, vcc, v4, v14
	v_subb_co_u32_e32 v5, vcc, v15, v14, vcc
.LBB24_19:
	s_andn2_saveexec_b64 s[0:1], s[2:3]
	s_cbranch_execz .LBB24_21
; %bb.20:
	v_cvt_f32_u32_e32 v4, s16
	s_sub_i32 s2, 0, s16
	v_rcp_iflag_f32_e32 v4, v4
	v_mul_f32_e32 v4, 0x4f7ffffe, v4
	v_cvt_u32_f32_e32 v4, v4
	v_mul_lo_u32 v5, s2, v4
	v_mul_hi_u32 v5, v4, v5
	v_add_u32_e32 v4, v4, v5
	v_mul_hi_u32 v4, v10, v4
	v_mul_lo_u32 v5, v4, s16
	v_add_u32_e32 v14, 1, v4
	v_sub_u32_e32 v5, v10, v5
	v_subrev_u32_e32 v15, s16, v5
	v_cmp_le_u32_e32 vcc, s16, v5
	v_cndmask_b32_e32 v5, v5, v15, vcc
	v_cndmask_b32_e32 v4, v4, v14, vcc
	v_add_u32_e32 v14, 1, v4
	v_cmp_le_u32_e32 vcc, s16, v5
	v_cndmask_b32_e32 v4, v4, v14, vcc
	v_mov_b32_e32 v5, 0
.LBB24_21:
	s_or_b64 exec, exec, s[0:1]
	v_mul_lo_u32 v16, s17, v4
	v_mul_lo_u32 v17, s16, v5
	v_mad_u64_u32 v[14:15], s[0:1], s16, v4, 0
	v_add3_u32 v15, v15, v17, v16
	v_sub_co_u32_e32 v14, vcc, v10, v14
	v_subb_co_u32_e32 v15, vcc, v11, v15, vcc
	v_or_b32_e32 v11, s41, v15
	v_mov_b32_e32 v10, 0
	v_cmp_ne_u64_e32 vcc, 0, v[10:11]
                                        ; implicit-def: $vgpr10_vgpr11
	s_and_saveexec_b64 s[0:1], vcc
	s_xor_b64 s[2:3], exec, s[0:1]
	s_cbranch_execz .LBB24_23
; %bb.22:
	s_ashr_i32 s6, s41, 31
	s_add_u32 s0, s40, s6
	s_mov_b32 s7, s6
	s_addc_u32 s1, s41, s6
	s_xor_b64 s[12:13], s[0:1], s[6:7]
	v_cvt_f32_u32_e32 v10, s12
	v_cvt_f32_u32_e32 v11, s13
	s_sub_u32 s7, 0, s12
	s_subb_u32 s16, 0, s13
	v_ashrrev_i32_e32 v18, 31, v15
	v_madmk_f32 v10, v11, 0x4f800000, v10
	v_rcp_f32_e32 v10, v10
	v_mul_f32_e32 v10, 0x5f7ffffc, v10
	v_mul_f32_e32 v11, 0x2f800000, v10
	v_trunc_f32_e32 v11, v11
	v_madmk_f32 v10, v11, 0xcf800000, v10
	v_cvt_u32_f32_e32 v11, v11
	v_cvt_u32_f32_e32 v10, v10
	v_readfirstlane_b32 s17, v11
	v_readfirstlane_b32 s0, v10
	s_mul_i32 s1, s7, s17
	s_mul_hi_u32 s19, s7, s0
	s_mul_i32 s18, s16, s0
	s_add_i32 s1, s19, s1
	s_add_i32 s1, s1, s18
	s_mul_i32 s24, s7, s0
	s_mul_i32 s19, s0, s1
	s_mul_hi_u32 s25, s0, s24
	s_mul_hi_u32 s18, s0, s1
	s_add_u32 s19, s25, s19
	s_addc_u32 s18, 0, s18
	s_mul_hi_u32 s26, s17, s24
	s_mul_i32 s24, s17, s24
	s_add_u32 s19, s19, s24
	s_mul_hi_u32 s25, s17, s1
	s_addc_u32 s18, s18, s26
	s_addc_u32 s19, s25, 0
	s_mul_i32 s1, s17, s1
	s_add_u32 s1, s18, s1
	s_addc_u32 s18, 0, s19
	s_add_u32 s19, s0, s1
	s_cselect_b64 s[0:1], -1, 0
	s_cmp_lg_u64 s[0:1], 0
	s_addc_u32 s17, s17, s18
	s_mul_i32 s0, s7, s17
	s_mul_hi_u32 s1, s7, s19
	s_add_i32 s0, s1, s0
	s_mul_i32 s16, s16, s19
	s_add_i32 s0, s0, s16
	s_mul_i32 s7, s7, s19
	s_mul_hi_u32 s16, s17, s7
	s_mul_i32 s18, s17, s7
	s_mul_i32 s25, s19, s0
	s_mul_hi_u32 s7, s19, s7
	s_mul_hi_u32 s24, s19, s0
	s_add_u32 s7, s7, s25
	s_addc_u32 s24, 0, s24
	s_add_u32 s7, s7, s18
	s_mul_hi_u32 s1, s17, s0
	s_addc_u32 s7, s24, s16
	s_addc_u32 s1, s1, 0
	s_mul_i32 s0, s17, s0
	s_add_u32 s0, s7, s0
	s_addc_u32 s7, 0, s1
	s_add_u32 s16, s19, s0
	s_cselect_b64 s[0:1], -1, 0
	s_cmp_lg_u64 s[0:1], 0
	v_add_co_u32_e32 v10, vcc, v14, v18
	s_addc_u32 s7, s17, s7
	v_xor_b32_e32 v19, v10, v18
	v_mad_u64_u32 v[10:11], s[0:1], v19, s7, 0
	v_mul_hi_u32 v17, v19, s16
	v_addc_co_u32_e32 v16, vcc, v15, v18, vcc
	v_xor_b32_e32 v20, v16, v18
	v_add_co_u32_e32 v21, vcc, v17, v10
	v_addc_co_u32_e32 v22, vcc, 0, v11, vcc
	v_mad_u64_u32 v[10:11], s[0:1], v20, s16, 0
	v_mad_u64_u32 v[16:17], s[0:1], v20, s7, 0
	v_add_co_u32_e32 v10, vcc, v21, v10
	v_addc_co_u32_e32 v10, vcc, v22, v11, vcc
	v_addc_co_u32_e32 v11, vcc, 0, v17, vcc
	v_add_co_u32_e32 v16, vcc, v10, v16
	v_addc_co_u32_e32 v17, vcc, 0, v11, vcc
	v_mul_lo_u32 v21, s13, v16
	v_mul_lo_u32 v22, s12, v17
	v_mad_u64_u32 v[10:11], s[0:1], s12, v16, 0
	v_add3_u32 v11, v11, v22, v21
	v_sub_u32_e32 v21, v20, v11
	v_mov_b32_e32 v22, s13
	v_sub_co_u32_e32 v10, vcc, v19, v10
	v_subb_co_u32_e64 v19, s[0:1], v21, v22, vcc
	v_subrev_co_u32_e64 v21, s[0:1], s12, v10
	v_subbrev_co_u32_e64 v19, s[0:1], 0, v19, s[0:1]
	v_cmp_le_u32_e64 s[0:1], s13, v19
	v_cndmask_b32_e64 v22, 0, -1, s[0:1]
	v_cmp_le_u32_e64 s[0:1], s12, v21
	v_cndmask_b32_e64 v21, 0, -1, s[0:1]
	v_cmp_eq_u32_e64 s[0:1], s13, v19
	v_cndmask_b32_e64 v19, v22, v21, s[0:1]
	v_add_co_u32_e64 v21, s[0:1], 2, v16
	v_subb_co_u32_e32 v11, vcc, v20, v11, vcc
	v_addc_co_u32_e64 v22, s[0:1], 0, v17, s[0:1]
	v_cmp_le_u32_e32 vcc, s13, v11
	v_add_co_u32_e64 v23, s[0:1], 1, v16
	v_cndmask_b32_e64 v20, 0, -1, vcc
	v_cmp_le_u32_e32 vcc, s12, v10
	v_addc_co_u32_e64 v24, s[0:1], 0, v17, s[0:1]
	v_cndmask_b32_e64 v10, 0, -1, vcc
	v_cmp_eq_u32_e32 vcc, s13, v11
	v_cmp_ne_u32_e64 s[0:1], 0, v19
	v_cndmask_b32_e32 v10, v20, v10, vcc
	v_cndmask_b32_e64 v19, v24, v22, s[0:1]
	v_cmp_ne_u32_e32 vcc, 0, v10
	v_cndmask_b32_e64 v11, v23, v21, s[0:1]
	v_cndmask_b32_e32 v10, v17, v19, vcc
	v_cndmask_b32_e32 v11, v16, v11, vcc
	v_xor_b32_e32 v16, s6, v18
	v_xor_b32_e32 v17, v10, v16
	;; [unrolled: 1-line block ×3, first 2 shown]
	v_sub_co_u32_e32 v10, vcc, v10, v16
	v_subb_co_u32_e32 v11, vcc, v17, v16, vcc
.LBB24_23:
	s_andn2_saveexec_b64 s[0:1], s[2:3]
	s_cbranch_execz .LBB24_25
; %bb.24:
	v_cvt_f32_u32_e32 v10, s40
	s_sub_i32 s2, 0, s40
	v_rcp_iflag_f32_e32 v10, v10
	v_mul_f32_e32 v10, 0x4f7ffffe, v10
	v_cvt_u32_f32_e32 v10, v10
	v_mul_lo_u32 v11, s2, v10
	v_mul_hi_u32 v11, v10, v11
	v_add_u32_e32 v10, v10, v11
	v_mul_hi_u32 v10, v14, v10
	v_mul_lo_u32 v11, v10, s40
	v_add_u32_e32 v16, 1, v10
	v_sub_u32_e32 v11, v14, v11
	v_subrev_u32_e32 v17, s40, v11
	v_cmp_le_u32_e32 vcc, s40, v11
	v_cndmask_b32_e32 v11, v11, v17, vcc
	v_cndmask_b32_e32 v10, v10, v16, vcc
	v_add_u32_e32 v16, 1, v10
	v_cmp_le_u32_e32 vcc, s40, v11
	v_cndmask_b32_e32 v10, v10, v16, vcc
	v_mov_b32_e32 v11, 0
.LBB24_25:
	s_or_b64 exec, exec, s[0:1]
	v_mul_lo_u32 v18, v7, s14
	v_mul_lo_u32 v19, v6, s15
	v_mad_u64_u32 v[16:17], s[0:1], v6, s14, 0
	v_mul_lo_u32 v7, v7, s22
	v_mul_lo_u32 v3, v3, s36
	v_add3_u32 v17, v17, v19, v18
	v_sub_co_u32_e32 v16, vcc, v12, v16
	v_subb_co_u32_e32 v17, vcc, v13, v17, vcc
	v_mov_b32_e32 v12, s8
	v_mov_b32_e32 v13, s9
	v_mul_lo_u32 v18, v16, s21
	v_mul_lo_u32 v17, v17, s20
	v_mad_u64_u32 v[12:13], s[0:1], v16, s20, v[12:13]
	v_mul_lo_u32 v1, v1, s38
	v_add3_u32 v13, v17, v13, v18
	v_mad_u64_u32 v[12:13], s[0:1], v6, s22, v[12:13]
	v_mul_lo_u32 v6, v6, s23
	v_add3_u32 v13, v7, v13, v6
	v_mad_u64_u32 v[6:7], s[0:1], v2, s36, v[12:13]
	v_mul_lo_u32 v2, v2, s37
	v_mul_lo_u32 v12, v10, s41
	v_add3_u32 v7, v3, v7, v2
	v_mad_u64_u32 v[2:3], s[0:1], v0, s38, v[6:7]
	v_mul_lo_u32 v0, v0, s39
	v_mul_lo_u32 v7, v11, s40
	v_add3_u32 v3, v1, v3, v0
	global_load_ushort v6, v[2:3], off
	v_mad_u64_u32 v[0:1], s[0:1], v10, s40, 0
	v_mov_b32_e32 v2, s10
	v_mov_b32_e32 v3, s11
	v_add3_u32 v1, v1, v12, v7
	v_sub_co_u32_e32 v0, vcc, v14, v0
	v_subb_co_u32_e32 v1, vcc, v15, v1, vcc
	v_mul_lo_u32 v7, v0, s47
	v_mul_lo_u32 v12, v1, s46
	v_mad_u64_u32 v[0:1], s[0:1], v0, s46, v[2:3]
	v_mul_lo_u32 v2, v10, s49
	v_mul_lo_u32 v3, v11, s48
	v_add3_u32 v1, v12, v1, v7
	v_mad_u64_u32 v[0:1], s[0:1], v10, s48, v[0:1]
	v_add3_u32 v1, v3, v1, v2
	v_mad_u64_u32 v[0:1], s[0:1], v4, s50, v[0:1]
	v_mul_lo_u32 v2, v4, s51
	v_mul_lo_u32 v3, v5, s50
	s_load_dwordx2 s[0:1], s[4:5], 0x80
	v_add3_u32 v1, v3, v1, v2
	s_waitcnt lgkmcnt(0)
	v_mad_u64_u32 v[0:1], s[2:3], v8, s0, v[0:1]
	v_mul_lo_u32 v2, v8, s1
	v_mul_lo_u32 v3, v9, s0
	v_add3_u32 v1, v3, v1, v2
	s_waitcnt vmcnt(0)
	global_store_short v[0:1], v6, off
.LBB24_26:
	s_endpgm
	.section	.rodata,"a",@progbits
	.p2align	6, 0x0
	.amdhsa_kernel _ZL10cpy_scalarIXadL_ZL12cpy_1_scalarI14__hip_bfloat16S1_EvPKcPcEEEvS3_S4_lllllllllllllll
		.amdhsa_group_segment_fixed_size 0
		.amdhsa_private_segment_fixed_size 0
		.amdhsa_kernarg_size 392
		.amdhsa_user_sgpr_count 6
		.amdhsa_user_sgpr_private_segment_buffer 1
		.amdhsa_user_sgpr_dispatch_ptr 0
		.amdhsa_user_sgpr_queue_ptr 0
		.amdhsa_user_sgpr_kernarg_segment_ptr 1
		.amdhsa_user_sgpr_dispatch_id 0
		.amdhsa_user_sgpr_flat_scratch_init 0
		.amdhsa_user_sgpr_private_segment_size 0
		.amdhsa_uses_dynamic_stack 0
		.amdhsa_system_sgpr_private_segment_wavefront_offset 0
		.amdhsa_system_sgpr_workgroup_id_x 1
		.amdhsa_system_sgpr_workgroup_id_y 0
		.amdhsa_system_sgpr_workgroup_id_z 0
		.amdhsa_system_sgpr_workgroup_info 0
		.amdhsa_system_vgpr_workitem_id 0
		.amdhsa_next_free_vgpr 25
		.amdhsa_next_free_sgpr 52
		.amdhsa_reserve_vcc 1
		.amdhsa_reserve_flat_scratch 0
		.amdhsa_float_round_mode_32 0
		.amdhsa_float_round_mode_16_64 0
		.amdhsa_float_denorm_mode_32 3
		.amdhsa_float_denorm_mode_16_64 3
		.amdhsa_dx10_clamp 1
		.amdhsa_ieee_mode 1
		.amdhsa_fp16_overflow 0
		.amdhsa_exception_fp_ieee_invalid_op 0
		.amdhsa_exception_fp_denorm_src 0
		.amdhsa_exception_fp_ieee_div_zero 0
		.amdhsa_exception_fp_ieee_overflow 0
		.amdhsa_exception_fp_ieee_underflow 0
		.amdhsa_exception_fp_ieee_inexact 0
		.amdhsa_exception_int_div_zero 0
	.end_amdhsa_kernel
	.section	.text._ZL10cpy_scalarIXadL_ZL12cpy_1_scalarI14__hip_bfloat16S1_EvPKcPcEEEvS3_S4_lllllllllllllll,"axG",@progbits,_ZL10cpy_scalarIXadL_ZL12cpy_1_scalarI14__hip_bfloat16S1_EvPKcPcEEEvS3_S4_lllllllllllllll,comdat
.Lfunc_end24:
	.size	_ZL10cpy_scalarIXadL_ZL12cpy_1_scalarI14__hip_bfloat16S1_EvPKcPcEEEvS3_S4_lllllllllllllll, .Lfunc_end24-_ZL10cpy_scalarIXadL_ZL12cpy_1_scalarI14__hip_bfloat16S1_EvPKcPcEEEvS3_S4_lllllllllllllll
                                        ; -- End function
	.set _ZL10cpy_scalarIXadL_ZL12cpy_1_scalarI14__hip_bfloat16S1_EvPKcPcEEEvS3_S4_lllllllllllllll.num_vgpr, 25
	.set _ZL10cpy_scalarIXadL_ZL12cpy_1_scalarI14__hip_bfloat16S1_EvPKcPcEEEvS3_S4_lllllllllllllll.num_agpr, 0
	.set _ZL10cpy_scalarIXadL_ZL12cpy_1_scalarI14__hip_bfloat16S1_EvPKcPcEEEvS3_S4_lllllllllllllll.numbered_sgpr, 52
	.set _ZL10cpy_scalarIXadL_ZL12cpy_1_scalarI14__hip_bfloat16S1_EvPKcPcEEEvS3_S4_lllllllllllllll.num_named_barrier, 0
	.set _ZL10cpy_scalarIXadL_ZL12cpy_1_scalarI14__hip_bfloat16S1_EvPKcPcEEEvS3_S4_lllllllllllllll.private_seg_size, 0
	.set _ZL10cpy_scalarIXadL_ZL12cpy_1_scalarI14__hip_bfloat16S1_EvPKcPcEEEvS3_S4_lllllllllllllll.uses_vcc, 1
	.set _ZL10cpy_scalarIXadL_ZL12cpy_1_scalarI14__hip_bfloat16S1_EvPKcPcEEEvS3_S4_lllllllllllllll.uses_flat_scratch, 0
	.set _ZL10cpy_scalarIXadL_ZL12cpy_1_scalarI14__hip_bfloat16S1_EvPKcPcEEEvS3_S4_lllllllllllllll.has_dyn_sized_stack, 0
	.set _ZL10cpy_scalarIXadL_ZL12cpy_1_scalarI14__hip_bfloat16S1_EvPKcPcEEEvS3_S4_lllllllllllllll.has_recursion, 0
	.set _ZL10cpy_scalarIXadL_ZL12cpy_1_scalarI14__hip_bfloat16S1_EvPKcPcEEEvS3_S4_lllllllllllllll.has_indirect_call, 0
	.section	.AMDGPU.csdata,"",@progbits
; Kernel info:
; codeLenInByte = 5196
; TotalNumSgprs: 56
; NumVgprs: 25
; ScratchSize: 0
; MemoryBound: 0
; FloatMode: 240
; IeeeMode: 1
; LDSByteSize: 0 bytes/workgroup (compile time only)
; SGPRBlocks: 6
; VGPRBlocks: 6
; NumSGPRsForWavesPerEU: 56
; NumVGPRsForWavesPerEU: 25
; Occupancy: 9
; WaveLimiterHint : 0
; COMPUTE_PGM_RSRC2:SCRATCH_EN: 0
; COMPUTE_PGM_RSRC2:USER_SGPR: 6
; COMPUTE_PGM_RSRC2:TRAP_HANDLER: 0
; COMPUTE_PGM_RSRC2:TGID_X_EN: 1
; COMPUTE_PGM_RSRC2:TGID_Y_EN: 0
; COMPUTE_PGM_RSRC2:TGID_Z_EN: 0
; COMPUTE_PGM_RSRC2:TIDIG_COMP_CNT: 0
	.section	.text._ZL21cpy_scalar_contiguousI14__hip_bfloat166__halfEvPKcPcl,"axG",@progbits,_ZL21cpy_scalar_contiguousI14__hip_bfloat166__halfEvPKcPcl,comdat
	.globl	_ZL21cpy_scalar_contiguousI14__hip_bfloat166__halfEvPKcPcl ; -- Begin function _ZL21cpy_scalar_contiguousI14__hip_bfloat166__halfEvPKcPcl
	.p2align	8
	.type	_ZL21cpy_scalar_contiguousI14__hip_bfloat166__halfEvPKcPcl,@function
_ZL21cpy_scalar_contiguousI14__hip_bfloat166__halfEvPKcPcl: ; @_ZL21cpy_scalar_contiguousI14__hip_bfloat166__halfEvPKcPcl
; %bb.0:
	s_load_dword s2, s[4:5], 0x24
	s_load_dwordx2 s[0:1], s[4:5], 0x10
	v_mov_b32_e32 v1, 0
	v_mov_b32_e32 v2, s6
	s_waitcnt lgkmcnt(0)
	s_and_b32 s2, s2, 0xffff
	v_mad_u64_u32 v[0:1], s[2:3], s2, v2, v[0:1]
	v_cmp_gt_i64_e32 vcc, s[0:1], v[0:1]
	s_and_saveexec_b64 s[0:1], vcc
	s_cbranch_execz .LBB25_2
; %bb.1:
	s_load_dwordx4 s[0:3], s[4:5], 0x0
	v_lshlrev_b64 v[0:1], 1, v[0:1]
	s_waitcnt lgkmcnt(0)
	v_mov_b32_e32 v3, s1
	v_add_co_u32_e32 v2, vcc, s0, v0
	v_addc_co_u32_e32 v3, vcc, v3, v1, vcc
	global_load_ushort v2, v[2:3], off
	v_mov_b32_e32 v3, s3
	v_add_co_u32_e32 v0, vcc, s2, v0
	v_addc_co_u32_e32 v1, vcc, v3, v1, vcc
	s_waitcnt vmcnt(0)
	v_lshlrev_b32_e32 v2, 16, v2
	v_cvt_f16_f32_e32 v2, v2
	global_store_short v[0:1], v2, off
.LBB25_2:
	s_endpgm
	.section	.rodata,"a",@progbits
	.p2align	6, 0x0
	.amdhsa_kernel _ZL21cpy_scalar_contiguousI14__hip_bfloat166__halfEvPKcPcl
		.amdhsa_group_segment_fixed_size 0
		.amdhsa_private_segment_fixed_size 0
		.amdhsa_kernarg_size 280
		.amdhsa_user_sgpr_count 6
		.amdhsa_user_sgpr_private_segment_buffer 1
		.amdhsa_user_sgpr_dispatch_ptr 0
		.amdhsa_user_sgpr_queue_ptr 0
		.amdhsa_user_sgpr_kernarg_segment_ptr 1
		.amdhsa_user_sgpr_dispatch_id 0
		.amdhsa_user_sgpr_flat_scratch_init 0
		.amdhsa_user_sgpr_private_segment_size 0
		.amdhsa_uses_dynamic_stack 0
		.amdhsa_system_sgpr_private_segment_wavefront_offset 0
		.amdhsa_system_sgpr_workgroup_id_x 1
		.amdhsa_system_sgpr_workgroup_id_y 0
		.amdhsa_system_sgpr_workgroup_id_z 0
		.amdhsa_system_sgpr_workgroup_info 0
		.amdhsa_system_vgpr_workitem_id 0
		.amdhsa_next_free_vgpr 4
		.amdhsa_next_free_sgpr 7
		.amdhsa_reserve_vcc 1
		.amdhsa_reserve_flat_scratch 0
		.amdhsa_float_round_mode_32 0
		.amdhsa_float_round_mode_16_64 0
		.amdhsa_float_denorm_mode_32 3
		.amdhsa_float_denorm_mode_16_64 3
		.amdhsa_dx10_clamp 1
		.amdhsa_ieee_mode 1
		.amdhsa_fp16_overflow 0
		.amdhsa_exception_fp_ieee_invalid_op 0
		.amdhsa_exception_fp_denorm_src 0
		.amdhsa_exception_fp_ieee_div_zero 0
		.amdhsa_exception_fp_ieee_overflow 0
		.amdhsa_exception_fp_ieee_underflow 0
		.amdhsa_exception_fp_ieee_inexact 0
		.amdhsa_exception_int_div_zero 0
	.end_amdhsa_kernel
	.section	.text._ZL21cpy_scalar_contiguousI14__hip_bfloat166__halfEvPKcPcl,"axG",@progbits,_ZL21cpy_scalar_contiguousI14__hip_bfloat166__halfEvPKcPcl,comdat
.Lfunc_end25:
	.size	_ZL21cpy_scalar_contiguousI14__hip_bfloat166__halfEvPKcPcl, .Lfunc_end25-_ZL21cpy_scalar_contiguousI14__hip_bfloat166__halfEvPKcPcl
                                        ; -- End function
	.set _ZL21cpy_scalar_contiguousI14__hip_bfloat166__halfEvPKcPcl.num_vgpr, 4
	.set _ZL21cpy_scalar_contiguousI14__hip_bfloat166__halfEvPKcPcl.num_agpr, 0
	.set _ZL21cpy_scalar_contiguousI14__hip_bfloat166__halfEvPKcPcl.numbered_sgpr, 7
	.set _ZL21cpy_scalar_contiguousI14__hip_bfloat166__halfEvPKcPcl.num_named_barrier, 0
	.set _ZL21cpy_scalar_contiguousI14__hip_bfloat166__halfEvPKcPcl.private_seg_size, 0
	.set _ZL21cpy_scalar_contiguousI14__hip_bfloat166__halfEvPKcPcl.uses_vcc, 1
	.set _ZL21cpy_scalar_contiguousI14__hip_bfloat166__halfEvPKcPcl.uses_flat_scratch, 0
	.set _ZL21cpy_scalar_contiguousI14__hip_bfloat166__halfEvPKcPcl.has_dyn_sized_stack, 0
	.set _ZL21cpy_scalar_contiguousI14__hip_bfloat166__halfEvPKcPcl.has_recursion, 0
	.set _ZL21cpy_scalar_contiguousI14__hip_bfloat166__halfEvPKcPcl.has_indirect_call, 0
	.section	.AMDGPU.csdata,"",@progbits
; Kernel info:
; codeLenInByte = 132
; TotalNumSgprs: 11
; NumVgprs: 4
; ScratchSize: 0
; MemoryBound: 0
; FloatMode: 240
; IeeeMode: 1
; LDSByteSize: 0 bytes/workgroup (compile time only)
; SGPRBlocks: 1
; VGPRBlocks: 0
; NumSGPRsForWavesPerEU: 11
; NumVGPRsForWavesPerEU: 4
; Occupancy: 10
; WaveLimiterHint : 0
; COMPUTE_PGM_RSRC2:SCRATCH_EN: 0
; COMPUTE_PGM_RSRC2:USER_SGPR: 6
; COMPUTE_PGM_RSRC2:TRAP_HANDLER: 0
; COMPUTE_PGM_RSRC2:TGID_X_EN: 1
; COMPUTE_PGM_RSRC2:TGID_Y_EN: 0
; COMPUTE_PGM_RSRC2:TGID_Z_EN: 0
; COMPUTE_PGM_RSRC2:TIDIG_COMP_CNT: 0
	.section	.text._ZL10cpy_scalarIXadL_ZL12cpy_1_scalarI14__hip_bfloat166__halfEvPKcPcEEEvS4_S5_lllllllllllllll,"axG",@progbits,_ZL10cpy_scalarIXadL_ZL12cpy_1_scalarI14__hip_bfloat166__halfEvPKcPcEEEvS4_S5_lllllllllllllll,comdat
	.globl	_ZL10cpy_scalarIXadL_ZL12cpy_1_scalarI14__hip_bfloat166__halfEvPKcPcEEEvS4_S5_lllllllllllllll ; -- Begin function _ZL10cpy_scalarIXadL_ZL12cpy_1_scalarI14__hip_bfloat166__halfEvPKcPcEEEvS4_S5_lllllllllllllll
	.p2align	8
	.type	_ZL10cpy_scalarIXadL_ZL12cpy_1_scalarI14__hip_bfloat166__halfEvPKcPcEEEvS4_S5_lllllllllllllll,@function
_ZL10cpy_scalarIXadL_ZL12cpy_1_scalarI14__hip_bfloat166__halfEvPKcPcEEEvS4_S5_lllllllllllllll: ; @_ZL10cpy_scalarIXadL_ZL12cpy_1_scalarI14__hip_bfloat166__halfEvPKcPcEEEvS4_S5_lllllllllllllll
; %bb.0:
	s_load_dword s0, s[4:5], 0x94
	v_mov_b32_e32 v2, 0
	s_load_dwordx16 s[8:23], s[4:5], 0x0
	v_mov_b32_e32 v1, v2
	v_mov_b32_e32 v3, s6
	s_waitcnt lgkmcnt(0)
	s_and_b32 s0, s0, 0xffff
	v_mad_u64_u32 v[4:5], s[0:1], s0, v3, v[0:1]
	v_cmp_gt_i64_e32 vcc, s[12:13], v[4:5]
	s_and_saveexec_b64 s[0:1], vcc
	s_cbranch_execz .LBB26_26
; %bb.1:
	s_mul_i32 s0, s16, s15
	s_mul_hi_u32 s1, s16, s14
	s_add_i32 s0, s1, s0
	s_mul_i32 s1, s17, s14
	s_mul_i32 s16, s16, s14
	s_add_i32 s17, s0, s1
	s_mul_i32 s0, s16, s19
	s_mul_hi_u32 s1, s16, s18
	s_add_i32 s0, s1, s0
	s_mul_i32 s1, s17, s18
	s_add_i32 s19, s0, s1
	v_or_b32_e32 v3, s19, v5
	v_cmp_ne_u64_e32 vcc, 0, v[2:3]
	s_mul_i32 s18, s16, s18
	v_ashrrev_i32_e32 v10, 31, v5
                                        ; implicit-def: $vgpr0_vgpr1
	s_and_saveexec_b64 s[0:1], vcc
	s_xor_b64 s[2:3], exec, s[0:1]
	s_cbranch_execz .LBB26_3
; %bb.2:
	s_ashr_i32 s6, s19, 31
	s_add_u32 s0, s18, s6
	s_mov_b32 s7, s6
	s_addc_u32 s1, s19, s6
	s_xor_b64 s[12:13], s[0:1], s[6:7]
	v_cvt_f32_u32_e32 v0, s12
	v_cvt_f32_u32_e32 v1, s13
	s_sub_u32 s7, 0, s12
	s_subb_u32 s24, 0, s13
	v_madmk_f32 v0, v1, 0x4f800000, v0
	v_rcp_f32_e32 v0, v0
	v_mul_f32_e32 v0, 0x5f7ffffc, v0
	v_mul_f32_e32 v1, 0x2f800000, v0
	v_trunc_f32_e32 v1, v1
	v_madmk_f32 v0, v1, 0xcf800000, v0
	v_cvt_u32_f32_e32 v1, v1
	v_cvt_u32_f32_e32 v0, v0
	v_readfirstlane_b32 s25, v1
	v_readfirstlane_b32 s0, v0
	s_mul_i32 s1, s7, s25
	s_mul_hi_u32 s27, s7, s0
	s_mul_i32 s26, s24, s0
	s_add_i32 s1, s27, s1
	s_add_i32 s1, s1, s26
	s_mul_i32 s28, s7, s0
	s_mul_i32 s27, s0, s1
	s_mul_hi_u32 s29, s0, s28
	s_mul_hi_u32 s26, s0, s1
	s_add_u32 s27, s29, s27
	s_addc_u32 s26, 0, s26
	s_mul_hi_u32 s30, s25, s28
	s_mul_i32 s28, s25, s28
	s_add_u32 s27, s27, s28
	s_mul_hi_u32 s29, s25, s1
	s_addc_u32 s26, s26, s30
	s_addc_u32 s27, s29, 0
	s_mul_i32 s1, s25, s1
	s_add_u32 s1, s26, s1
	s_addc_u32 s26, 0, s27
	s_add_u32 s27, s0, s1
	s_cselect_b64 s[0:1], -1, 0
	s_cmp_lg_u64 s[0:1], 0
	s_addc_u32 s25, s25, s26
	s_mul_i32 s0, s7, s25
	s_mul_hi_u32 s1, s7, s27
	s_add_i32 s0, s1, s0
	s_mul_i32 s24, s24, s27
	s_add_i32 s0, s0, s24
	s_mul_i32 s7, s7, s27
	s_mul_hi_u32 s24, s25, s7
	s_mul_i32 s26, s25, s7
	s_mul_i32 s29, s27, s0
	s_mul_hi_u32 s7, s27, s7
	s_mul_hi_u32 s28, s27, s0
	s_add_u32 s7, s7, s29
	s_addc_u32 s28, 0, s28
	s_add_u32 s7, s7, s26
	s_mul_hi_u32 s1, s25, s0
	s_addc_u32 s7, s28, s24
	s_addc_u32 s1, s1, 0
	s_mul_i32 s0, s25, s0
	s_add_u32 s0, s7, s0
	s_addc_u32 s7, 0, s1
	s_add_u32 s24, s27, s0
	s_cselect_b64 s[0:1], -1, 0
	s_cmp_lg_u64 s[0:1], 0
	v_add_co_u32_e32 v0, vcc, v4, v10
	s_addc_u32 s7, s25, s7
	v_xor_b32_e32 v6, v0, v10
	v_mad_u64_u32 v[0:1], s[0:1], v6, s7, 0
	v_mul_hi_u32 v3, v6, s24
	v_addc_co_u32_e32 v2, vcc, v5, v10, vcc
	v_xor_b32_e32 v7, v2, v10
	v_add_co_u32_e32 v8, vcc, v3, v0
	v_addc_co_u32_e32 v9, vcc, 0, v1, vcc
	v_mad_u64_u32 v[0:1], s[0:1], v7, s24, 0
	v_mad_u64_u32 v[2:3], s[0:1], v7, s7, 0
	v_add_co_u32_e32 v0, vcc, v8, v0
	v_addc_co_u32_e32 v0, vcc, v9, v1, vcc
	v_addc_co_u32_e32 v1, vcc, 0, v3, vcc
	v_add_co_u32_e32 v2, vcc, v0, v2
	v_addc_co_u32_e32 v3, vcc, 0, v1, vcc
	v_mul_lo_u32 v8, s13, v2
	v_mul_lo_u32 v9, s12, v3
	v_mad_u64_u32 v[0:1], s[0:1], s12, v2, 0
	v_add3_u32 v1, v1, v9, v8
	v_sub_u32_e32 v8, v7, v1
	v_mov_b32_e32 v9, s13
	v_sub_co_u32_e32 v0, vcc, v6, v0
	v_subb_co_u32_e64 v6, s[0:1], v8, v9, vcc
	v_subrev_co_u32_e64 v8, s[0:1], s12, v0
	v_subbrev_co_u32_e64 v6, s[0:1], 0, v6, s[0:1]
	v_cmp_le_u32_e64 s[0:1], s13, v6
	v_cndmask_b32_e64 v9, 0, -1, s[0:1]
	v_cmp_le_u32_e64 s[0:1], s12, v8
	v_cndmask_b32_e64 v8, 0, -1, s[0:1]
	v_cmp_eq_u32_e64 s[0:1], s13, v6
	v_cndmask_b32_e64 v6, v9, v8, s[0:1]
	v_add_co_u32_e64 v8, s[0:1], 2, v2
	v_subb_co_u32_e32 v1, vcc, v7, v1, vcc
	v_addc_co_u32_e64 v9, s[0:1], 0, v3, s[0:1]
	v_cmp_le_u32_e32 vcc, s13, v1
	v_add_co_u32_e64 v11, s[0:1], 1, v2
	v_cndmask_b32_e64 v7, 0, -1, vcc
	v_cmp_le_u32_e32 vcc, s12, v0
	v_addc_co_u32_e64 v12, s[0:1], 0, v3, s[0:1]
	v_cndmask_b32_e64 v0, 0, -1, vcc
	v_cmp_eq_u32_e32 vcc, s13, v1
	v_cmp_ne_u32_e64 s[0:1], 0, v6
	v_cndmask_b32_e32 v0, v7, v0, vcc
	v_cndmask_b32_e64 v6, v12, v9, s[0:1]
	v_cmp_ne_u32_e32 vcc, 0, v0
	v_cndmask_b32_e64 v1, v11, v8, s[0:1]
	v_cndmask_b32_e32 v0, v3, v6, vcc
	v_cndmask_b32_e32 v1, v2, v1, vcc
	v_xor_b32_e32 v2, s6, v10
	v_xor_b32_e32 v3, v0, v2
	;; [unrolled: 1-line block ×3, first 2 shown]
	v_sub_co_u32_e32 v0, vcc, v0, v2
	v_subb_co_u32_e32 v1, vcc, v3, v2, vcc
.LBB26_3:
	s_andn2_saveexec_b64 s[0:1], s[2:3]
	s_cbranch_execz .LBB26_5
; %bb.4:
	v_cvt_f32_u32_e32 v0, s18
	s_sub_i32 s2, 0, s18
	v_rcp_iflag_f32_e32 v0, v0
	v_mul_f32_e32 v0, 0x4f7ffffe, v0
	v_cvt_u32_f32_e32 v0, v0
	v_mul_lo_u32 v1, s2, v0
	v_mul_hi_u32 v1, v0, v1
	v_add_u32_e32 v0, v0, v1
	v_mul_hi_u32 v0, v4, v0
	v_mul_lo_u32 v1, v0, s18
	v_add_u32_e32 v2, 1, v0
	v_sub_u32_e32 v1, v4, v1
	v_subrev_u32_e32 v3, s18, v1
	v_cmp_le_u32_e32 vcc, s18, v1
	v_cndmask_b32_e32 v1, v1, v3, vcc
	v_cndmask_b32_e32 v0, v0, v2, vcc
	v_add_u32_e32 v2, 1, v0
	v_cmp_le_u32_e32 vcc, s18, v1
	v_cndmask_b32_e32 v0, v0, v2, vcc
	v_mov_b32_e32 v1, 0
.LBB26_5:
	s_or_b64 exec, exec, s[0:1]
	v_mul_lo_u32 v6, s19, v0
	v_mul_lo_u32 v7, s18, v1
	v_mad_u64_u32 v[2:3], s[0:1], s18, v0, 0
	v_add3_u32 v3, v3, v7, v6
	v_sub_co_u32_e32 v6, vcc, v4, v2
	v_subb_co_u32_e32 v7, vcc, v5, v3, vcc
	v_or_b32_e32 v3, s17, v7
	v_mov_b32_e32 v2, 0
	v_cmp_ne_u64_e32 vcc, 0, v[2:3]
                                        ; implicit-def: $vgpr2_vgpr3
	s_and_saveexec_b64 s[0:1], vcc
	s_xor_b64 s[2:3], exec, s[0:1]
	s_cbranch_execz .LBB26_7
; %bb.6:
	s_ashr_i32 s6, s17, 31
	s_add_u32 s0, s16, s6
	s_mov_b32 s7, s6
	s_addc_u32 s1, s17, s6
	s_xor_b64 s[12:13], s[0:1], s[6:7]
	v_cvt_f32_u32_e32 v2, s12
	v_cvt_f32_u32_e32 v3, s13
	s_sub_u32 s7, 0, s12
	s_subb_u32 s18, 0, s13
	v_ashrrev_i32_e32 v11, 31, v7
	v_madmk_f32 v2, v3, 0x4f800000, v2
	v_rcp_f32_e32 v2, v2
	v_mul_f32_e32 v2, 0x5f7ffffc, v2
	v_mul_f32_e32 v3, 0x2f800000, v2
	v_trunc_f32_e32 v3, v3
	v_madmk_f32 v2, v3, 0xcf800000, v2
	v_cvt_u32_f32_e32 v3, v3
	v_cvt_u32_f32_e32 v2, v2
	v_readfirstlane_b32 s19, v3
	v_readfirstlane_b32 s0, v2
	s_mul_i32 s1, s7, s19
	s_mul_hi_u32 s25, s7, s0
	s_mul_i32 s24, s18, s0
	s_add_i32 s1, s25, s1
	s_add_i32 s1, s1, s24
	s_mul_i32 s26, s7, s0
	s_mul_i32 s25, s0, s1
	s_mul_hi_u32 s27, s0, s26
	s_mul_hi_u32 s24, s0, s1
	s_add_u32 s25, s27, s25
	s_addc_u32 s24, 0, s24
	s_mul_hi_u32 s28, s19, s26
	s_mul_i32 s26, s19, s26
	s_add_u32 s25, s25, s26
	s_mul_hi_u32 s27, s19, s1
	s_addc_u32 s24, s24, s28
	s_addc_u32 s25, s27, 0
	s_mul_i32 s1, s19, s1
	s_add_u32 s1, s24, s1
	s_addc_u32 s24, 0, s25
	s_add_u32 s25, s0, s1
	s_cselect_b64 s[0:1], -1, 0
	s_cmp_lg_u64 s[0:1], 0
	s_addc_u32 s19, s19, s24
	s_mul_i32 s0, s7, s19
	s_mul_hi_u32 s1, s7, s25
	s_add_i32 s0, s1, s0
	s_mul_i32 s18, s18, s25
	s_add_i32 s0, s0, s18
	s_mul_i32 s7, s7, s25
	s_mul_hi_u32 s18, s19, s7
	s_mul_i32 s24, s19, s7
	s_mul_i32 s27, s25, s0
	s_mul_hi_u32 s7, s25, s7
	s_mul_hi_u32 s26, s25, s0
	s_add_u32 s7, s7, s27
	s_addc_u32 s26, 0, s26
	s_add_u32 s7, s7, s24
	s_mul_hi_u32 s1, s19, s0
	s_addc_u32 s7, s26, s18
	s_addc_u32 s1, s1, 0
	s_mul_i32 s0, s19, s0
	s_add_u32 s0, s7, s0
	s_addc_u32 s7, 0, s1
	s_add_u32 s18, s25, s0
	s_cselect_b64 s[0:1], -1, 0
	s_cmp_lg_u64 s[0:1], 0
	v_add_co_u32_e32 v2, vcc, v6, v11
	s_addc_u32 s7, s19, s7
	v_xor_b32_e32 v12, v2, v11
	v_mad_u64_u32 v[2:3], s[0:1], v12, s7, 0
	v_mul_hi_u32 v9, v12, s18
	v_addc_co_u32_e32 v8, vcc, v7, v11, vcc
	v_xor_b32_e32 v13, v8, v11
	v_add_co_u32_e32 v14, vcc, v9, v2
	v_addc_co_u32_e32 v15, vcc, 0, v3, vcc
	v_mad_u64_u32 v[2:3], s[0:1], v13, s18, 0
	v_mad_u64_u32 v[8:9], s[0:1], v13, s7, 0
	v_add_co_u32_e32 v2, vcc, v14, v2
	v_addc_co_u32_e32 v2, vcc, v15, v3, vcc
	v_addc_co_u32_e32 v3, vcc, 0, v9, vcc
	v_add_co_u32_e32 v8, vcc, v2, v8
	v_addc_co_u32_e32 v9, vcc, 0, v3, vcc
	v_mul_lo_u32 v14, s13, v8
	v_mul_lo_u32 v15, s12, v9
	v_mad_u64_u32 v[2:3], s[0:1], s12, v8, 0
	v_add3_u32 v3, v3, v15, v14
	v_sub_u32_e32 v14, v13, v3
	v_mov_b32_e32 v15, s13
	v_sub_co_u32_e32 v2, vcc, v12, v2
	v_subb_co_u32_e64 v12, s[0:1], v14, v15, vcc
	v_subrev_co_u32_e64 v14, s[0:1], s12, v2
	v_subbrev_co_u32_e64 v12, s[0:1], 0, v12, s[0:1]
	v_cmp_le_u32_e64 s[0:1], s13, v12
	v_cndmask_b32_e64 v15, 0, -1, s[0:1]
	v_cmp_le_u32_e64 s[0:1], s12, v14
	v_cndmask_b32_e64 v14, 0, -1, s[0:1]
	v_cmp_eq_u32_e64 s[0:1], s13, v12
	v_cndmask_b32_e64 v12, v15, v14, s[0:1]
	v_add_co_u32_e64 v14, s[0:1], 2, v8
	v_subb_co_u32_e32 v3, vcc, v13, v3, vcc
	v_addc_co_u32_e64 v15, s[0:1], 0, v9, s[0:1]
	v_cmp_le_u32_e32 vcc, s13, v3
	v_add_co_u32_e64 v16, s[0:1], 1, v8
	v_cndmask_b32_e64 v13, 0, -1, vcc
	v_cmp_le_u32_e32 vcc, s12, v2
	v_addc_co_u32_e64 v17, s[0:1], 0, v9, s[0:1]
	v_cndmask_b32_e64 v2, 0, -1, vcc
	v_cmp_eq_u32_e32 vcc, s13, v3
	v_cmp_ne_u32_e64 s[0:1], 0, v12
	v_cndmask_b32_e32 v2, v13, v2, vcc
	v_cndmask_b32_e64 v12, v17, v15, s[0:1]
	v_cmp_ne_u32_e32 vcc, 0, v2
	v_cndmask_b32_e64 v3, v16, v14, s[0:1]
	v_cndmask_b32_e32 v2, v9, v12, vcc
	v_cndmask_b32_e32 v3, v8, v3, vcc
	v_xor_b32_e32 v8, s6, v11
	v_xor_b32_e32 v9, v2, v8
	;; [unrolled: 1-line block ×3, first 2 shown]
	v_sub_co_u32_e32 v2, vcc, v2, v8
	v_subb_co_u32_e32 v3, vcc, v9, v8, vcc
.LBB26_7:
	s_andn2_saveexec_b64 s[0:1], s[2:3]
	s_cbranch_execz .LBB26_9
; %bb.8:
	v_cvt_f32_u32_e32 v2, s16
	s_sub_i32 s2, 0, s16
	v_rcp_iflag_f32_e32 v2, v2
	v_mul_f32_e32 v2, 0x4f7ffffe, v2
	v_cvt_u32_f32_e32 v2, v2
	v_mul_lo_u32 v3, s2, v2
	v_mul_hi_u32 v3, v2, v3
	v_add_u32_e32 v2, v2, v3
	v_mul_hi_u32 v2, v6, v2
	v_mul_lo_u32 v3, v2, s16
	v_add_u32_e32 v8, 1, v2
	v_sub_u32_e32 v3, v6, v3
	v_subrev_u32_e32 v9, s16, v3
	v_cmp_le_u32_e32 vcc, s16, v3
	v_cndmask_b32_e32 v3, v3, v9, vcc
	v_cndmask_b32_e32 v2, v2, v8, vcc
	v_add_u32_e32 v8, 1, v2
	v_cmp_le_u32_e32 vcc, s16, v3
	v_cndmask_b32_e32 v2, v2, v8, vcc
	v_mov_b32_e32 v3, 0
.LBB26_9:
	s_or_b64 exec, exec, s[0:1]
	v_mul_lo_u32 v11, s17, v2
	v_mul_lo_u32 v12, s16, v3
	v_mad_u64_u32 v[8:9], s[0:1], s16, v2, 0
	v_add3_u32 v9, v9, v12, v11
	v_sub_co_u32_e32 v12, vcc, v6, v8
	v_subb_co_u32_e32 v13, vcc, v7, v9, vcc
	v_or_b32_e32 v7, s15, v13
	v_mov_b32_e32 v6, 0
	v_cmp_ne_u64_e32 vcc, 0, v[6:7]
                                        ; implicit-def: $vgpr6_vgpr7
	s_and_saveexec_b64 s[0:1], vcc
	s_xor_b64 s[2:3], exec, s[0:1]
	s_cbranch_execz .LBB26_11
; %bb.10:
	s_ashr_i32 s6, s15, 31
	s_add_u32 s0, s14, s6
	s_mov_b32 s7, s6
	s_addc_u32 s1, s15, s6
	s_xor_b64 s[12:13], s[0:1], s[6:7]
	v_cvt_f32_u32_e32 v6, s12
	v_cvt_f32_u32_e32 v7, s13
	s_sub_u32 s7, 0, s12
	s_subb_u32 s16, 0, s13
	v_ashrrev_i32_e32 v11, 31, v13
	v_madmk_f32 v6, v7, 0x4f800000, v6
	v_rcp_f32_e32 v6, v6
	v_mul_f32_e32 v6, 0x5f7ffffc, v6
	v_mul_f32_e32 v7, 0x2f800000, v6
	v_trunc_f32_e32 v7, v7
	v_madmk_f32 v6, v7, 0xcf800000, v6
	v_cvt_u32_f32_e32 v7, v7
	v_cvt_u32_f32_e32 v6, v6
	v_readfirstlane_b32 s17, v7
	v_readfirstlane_b32 s0, v6
	s_mul_i32 s1, s7, s17
	s_mul_hi_u32 s19, s7, s0
	s_mul_i32 s18, s16, s0
	s_add_i32 s1, s19, s1
	s_add_i32 s1, s1, s18
	s_mul_i32 s24, s7, s0
	s_mul_i32 s19, s0, s1
	s_mul_hi_u32 s25, s0, s24
	s_mul_hi_u32 s18, s0, s1
	s_add_u32 s19, s25, s19
	s_addc_u32 s18, 0, s18
	s_mul_hi_u32 s26, s17, s24
	s_mul_i32 s24, s17, s24
	s_add_u32 s19, s19, s24
	s_mul_hi_u32 s25, s17, s1
	s_addc_u32 s18, s18, s26
	s_addc_u32 s19, s25, 0
	s_mul_i32 s1, s17, s1
	s_add_u32 s1, s18, s1
	s_addc_u32 s18, 0, s19
	s_add_u32 s19, s0, s1
	s_cselect_b64 s[0:1], -1, 0
	s_cmp_lg_u64 s[0:1], 0
	s_addc_u32 s17, s17, s18
	s_mul_i32 s0, s7, s17
	s_mul_hi_u32 s1, s7, s19
	s_add_i32 s0, s1, s0
	s_mul_i32 s16, s16, s19
	s_add_i32 s0, s0, s16
	s_mul_i32 s7, s7, s19
	s_mul_hi_u32 s16, s17, s7
	s_mul_i32 s18, s17, s7
	s_mul_i32 s25, s19, s0
	s_mul_hi_u32 s7, s19, s7
	s_mul_hi_u32 s24, s19, s0
	s_add_u32 s7, s7, s25
	s_addc_u32 s24, 0, s24
	s_add_u32 s7, s7, s18
	s_mul_hi_u32 s1, s17, s0
	s_addc_u32 s7, s24, s16
	s_addc_u32 s1, s1, 0
	s_mul_i32 s0, s17, s0
	s_add_u32 s0, s7, s0
	s_addc_u32 s7, 0, s1
	s_add_u32 s16, s19, s0
	s_cselect_b64 s[0:1], -1, 0
	s_cmp_lg_u64 s[0:1], 0
	v_add_co_u32_e32 v6, vcc, v12, v11
	s_addc_u32 s7, s17, s7
	v_xor_b32_e32 v14, v6, v11
	v_mad_u64_u32 v[6:7], s[0:1], v14, s7, 0
	v_mul_hi_u32 v9, v14, s16
	v_addc_co_u32_e32 v8, vcc, v13, v11, vcc
	v_xor_b32_e32 v15, v8, v11
	v_add_co_u32_e32 v16, vcc, v9, v6
	v_addc_co_u32_e32 v17, vcc, 0, v7, vcc
	v_mad_u64_u32 v[6:7], s[0:1], v15, s16, 0
	v_mad_u64_u32 v[8:9], s[0:1], v15, s7, 0
	v_add_co_u32_e32 v6, vcc, v16, v6
	v_addc_co_u32_e32 v6, vcc, v17, v7, vcc
	v_addc_co_u32_e32 v7, vcc, 0, v9, vcc
	v_add_co_u32_e32 v8, vcc, v6, v8
	v_addc_co_u32_e32 v9, vcc, 0, v7, vcc
	v_mul_lo_u32 v16, s13, v8
	v_mul_lo_u32 v17, s12, v9
	v_mad_u64_u32 v[6:7], s[0:1], s12, v8, 0
	v_add3_u32 v7, v7, v17, v16
	v_sub_u32_e32 v16, v15, v7
	v_mov_b32_e32 v17, s13
	v_sub_co_u32_e32 v6, vcc, v14, v6
	v_subb_co_u32_e64 v14, s[0:1], v16, v17, vcc
	v_subrev_co_u32_e64 v16, s[0:1], s12, v6
	v_subbrev_co_u32_e64 v14, s[0:1], 0, v14, s[0:1]
	v_cmp_le_u32_e64 s[0:1], s13, v14
	v_cndmask_b32_e64 v17, 0, -1, s[0:1]
	v_cmp_le_u32_e64 s[0:1], s12, v16
	v_cndmask_b32_e64 v16, 0, -1, s[0:1]
	v_cmp_eq_u32_e64 s[0:1], s13, v14
	v_cndmask_b32_e64 v14, v17, v16, s[0:1]
	v_add_co_u32_e64 v16, s[0:1], 2, v8
	v_subb_co_u32_e32 v7, vcc, v15, v7, vcc
	v_addc_co_u32_e64 v17, s[0:1], 0, v9, s[0:1]
	v_cmp_le_u32_e32 vcc, s13, v7
	v_add_co_u32_e64 v18, s[0:1], 1, v8
	v_cndmask_b32_e64 v15, 0, -1, vcc
	v_cmp_le_u32_e32 vcc, s12, v6
	v_addc_co_u32_e64 v19, s[0:1], 0, v9, s[0:1]
	v_cndmask_b32_e64 v6, 0, -1, vcc
	v_cmp_eq_u32_e32 vcc, s13, v7
	v_cmp_ne_u32_e64 s[0:1], 0, v14
	v_cndmask_b32_e32 v6, v15, v6, vcc
	v_cndmask_b32_e64 v14, v19, v17, s[0:1]
	v_cmp_ne_u32_e32 vcc, 0, v6
	v_cndmask_b32_e64 v7, v18, v16, s[0:1]
	v_cndmask_b32_e32 v6, v9, v14, vcc
	v_cndmask_b32_e32 v7, v8, v7, vcc
	v_xor_b32_e32 v8, s6, v11
	v_xor_b32_e32 v9, v6, v8
	;; [unrolled: 1-line block ×3, first 2 shown]
	v_sub_co_u32_e32 v6, vcc, v6, v8
	v_subb_co_u32_e32 v7, vcc, v9, v8, vcc
.LBB26_11:
	s_andn2_saveexec_b64 s[0:1], s[2:3]
	s_cbranch_execz .LBB26_13
; %bb.12:
	v_cvt_f32_u32_e32 v6, s14
	s_sub_i32 s2, 0, s14
	v_rcp_iflag_f32_e32 v6, v6
	v_mul_f32_e32 v6, 0x4f7ffffe, v6
	v_cvt_u32_f32_e32 v6, v6
	v_mul_lo_u32 v7, s2, v6
	v_mul_hi_u32 v7, v6, v7
	v_add_u32_e32 v6, v6, v7
	v_mul_hi_u32 v6, v12, v6
	v_mul_lo_u32 v7, v6, s14
	v_add_u32_e32 v8, 1, v6
	v_sub_u32_e32 v7, v12, v7
	v_subrev_u32_e32 v9, s14, v7
	v_cmp_le_u32_e32 vcc, s14, v7
	v_cndmask_b32_e32 v7, v7, v9, vcc
	v_cndmask_b32_e32 v6, v6, v8, vcc
	v_add_u32_e32 v8, 1, v6
	v_cmp_le_u32_e32 vcc, s14, v7
	v_cndmask_b32_e32 v6, v6, v8, vcc
	v_mov_b32_e32 v7, 0
.LBB26_13:
	s_or_b64 exec, exec, s[0:1]
	s_load_dwordx16 s[36:51], s[4:5], 0x40
	v_mov_b32_e32 v8, 0
	s_waitcnt lgkmcnt(0)
	s_mul_i32 s0, s42, s41
	s_mul_hi_u32 s1, s42, s40
	s_mul_i32 s2, s43, s40
	s_mul_i32 s16, s42, s40
	s_add_i32 s17, s1, s0
	s_mul_i32 s0, s16, s45
	s_add_i32 s17, s17, s2
	s_mul_hi_u32 s1, s16, s44
	s_add_i32 s0, s1, s0
	s_mul_i32 s1, s17, s44
	s_add_i32 s18, s0, s1
	v_or_b32_e32 v9, s18, v5
	v_cmp_ne_u64_e32 vcc, 0, v[8:9]
	s_mul_i32 s19, s16, s44
                                        ; implicit-def: $vgpr8_vgpr9
	s_and_saveexec_b64 s[0:1], vcc
	s_xor_b64 s[2:3], exec, s[0:1]
	s_cbranch_execz .LBB26_15
; %bb.14:
	s_ashr_i32 s6, s18, 31
	s_add_u32 s0, s19, s6
	s_mov_b32 s7, s6
	s_addc_u32 s1, s18, s6
	s_xor_b64 s[12:13], s[0:1], s[6:7]
	v_cvt_f32_u32_e32 v8, s12
	v_cvt_f32_u32_e32 v9, s13
	s_sub_u32 s7, 0, s12
	s_subb_u32 s24, 0, s13
	v_madmk_f32 v8, v9, 0x4f800000, v8
	v_rcp_f32_e32 v8, v8
	v_mul_f32_e32 v8, 0x5f7ffffc, v8
	v_mul_f32_e32 v9, 0x2f800000, v8
	v_trunc_f32_e32 v9, v9
	v_madmk_f32 v8, v9, 0xcf800000, v8
	v_cvt_u32_f32_e32 v9, v9
	v_cvt_u32_f32_e32 v8, v8
	v_readfirstlane_b32 s25, v9
	v_readfirstlane_b32 s0, v8
	s_mul_i32 s1, s7, s25
	s_mul_hi_u32 s27, s7, s0
	s_mul_i32 s26, s24, s0
	s_add_i32 s1, s27, s1
	s_add_i32 s1, s1, s26
	s_mul_i32 s28, s7, s0
	s_mul_i32 s27, s0, s1
	s_mul_hi_u32 s29, s0, s28
	s_mul_hi_u32 s26, s0, s1
	s_add_u32 s27, s29, s27
	s_addc_u32 s26, 0, s26
	s_mul_hi_u32 s30, s25, s28
	s_mul_i32 s28, s25, s28
	s_add_u32 s27, s27, s28
	s_mul_hi_u32 s29, s25, s1
	s_addc_u32 s26, s26, s30
	s_addc_u32 s27, s29, 0
	s_mul_i32 s1, s25, s1
	s_add_u32 s1, s26, s1
	s_addc_u32 s26, 0, s27
	s_add_u32 s27, s0, s1
	s_cselect_b64 s[0:1], -1, 0
	s_cmp_lg_u64 s[0:1], 0
	s_addc_u32 s25, s25, s26
	s_mul_i32 s0, s7, s25
	s_mul_hi_u32 s1, s7, s27
	s_add_i32 s0, s1, s0
	s_mul_i32 s24, s24, s27
	s_add_i32 s0, s0, s24
	s_mul_i32 s7, s7, s27
	s_mul_hi_u32 s24, s25, s7
	s_mul_i32 s26, s25, s7
	s_mul_i32 s29, s27, s0
	s_mul_hi_u32 s7, s27, s7
	s_mul_hi_u32 s28, s27, s0
	s_add_u32 s7, s7, s29
	s_addc_u32 s28, 0, s28
	s_add_u32 s7, s7, s26
	s_mul_hi_u32 s1, s25, s0
	s_addc_u32 s7, s28, s24
	s_addc_u32 s1, s1, 0
	s_mul_i32 s0, s25, s0
	s_add_u32 s0, s7, s0
	s_addc_u32 s7, 0, s1
	s_add_u32 s24, s27, s0
	s_cselect_b64 s[0:1], -1, 0
	s_cmp_lg_u64 s[0:1], 0
	v_add_co_u32_e32 v8, vcc, v4, v10
	s_addc_u32 s7, s25, s7
	v_xor_b32_e32 v16, v8, v10
	v_mad_u64_u32 v[8:9], s[0:1], v16, s7, 0
	v_mul_hi_u32 v14, v16, s24
	v_addc_co_u32_e32 v11, vcc, v5, v10, vcc
	v_xor_b32_e32 v11, v11, v10
	v_add_co_u32_e32 v17, vcc, v14, v8
	v_addc_co_u32_e32 v18, vcc, 0, v9, vcc
	v_mad_u64_u32 v[8:9], s[0:1], v11, s24, 0
	v_mad_u64_u32 v[14:15], s[0:1], v11, s7, 0
	v_add_co_u32_e32 v8, vcc, v17, v8
	v_addc_co_u32_e32 v8, vcc, v18, v9, vcc
	v_addc_co_u32_e32 v9, vcc, 0, v15, vcc
	v_add_co_u32_e32 v14, vcc, v8, v14
	v_addc_co_u32_e32 v15, vcc, 0, v9, vcc
	v_mul_lo_u32 v17, s13, v14
	v_mul_lo_u32 v18, s12, v15
	v_mad_u64_u32 v[8:9], s[0:1], s12, v14, 0
	v_xor_b32_e32 v10, s6, v10
	v_add3_u32 v9, v9, v18, v17
	v_sub_u32_e32 v17, v11, v9
	v_mov_b32_e32 v18, s13
	v_sub_co_u32_e32 v8, vcc, v16, v8
	v_subb_co_u32_e64 v16, s[0:1], v17, v18, vcc
	v_subrev_co_u32_e64 v17, s[0:1], s12, v8
	v_subbrev_co_u32_e64 v16, s[0:1], 0, v16, s[0:1]
	v_cmp_le_u32_e64 s[0:1], s13, v16
	v_cndmask_b32_e64 v18, 0, -1, s[0:1]
	v_cmp_le_u32_e64 s[0:1], s12, v17
	v_cndmask_b32_e64 v17, 0, -1, s[0:1]
	v_cmp_eq_u32_e64 s[0:1], s13, v16
	v_cndmask_b32_e64 v16, v18, v17, s[0:1]
	v_add_co_u32_e64 v17, s[0:1], 2, v14
	v_subb_co_u32_e32 v9, vcc, v11, v9, vcc
	v_addc_co_u32_e64 v18, s[0:1], 0, v15, s[0:1]
	v_cmp_le_u32_e32 vcc, s13, v9
	v_add_co_u32_e64 v19, s[0:1], 1, v14
	v_cndmask_b32_e64 v11, 0, -1, vcc
	v_cmp_le_u32_e32 vcc, s12, v8
	v_addc_co_u32_e64 v20, s[0:1], 0, v15, s[0:1]
	v_cndmask_b32_e64 v8, 0, -1, vcc
	v_cmp_eq_u32_e32 vcc, s13, v9
	v_cmp_ne_u32_e64 s[0:1], 0, v16
	v_cndmask_b32_e32 v8, v11, v8, vcc
	v_cndmask_b32_e64 v16, v20, v18, s[0:1]
	v_cmp_ne_u32_e32 vcc, 0, v8
	v_cndmask_b32_e64 v9, v19, v17, s[0:1]
	v_cndmask_b32_e32 v8, v15, v16, vcc
	v_cndmask_b32_e32 v9, v14, v9, vcc
	v_xor_b32_e32 v11, v8, v10
	v_xor_b32_e32 v8, v9, v10
	v_sub_co_u32_e32 v8, vcc, v8, v10
	v_subb_co_u32_e32 v9, vcc, v11, v10, vcc
.LBB26_15:
	s_andn2_saveexec_b64 s[0:1], s[2:3]
	s_cbranch_execz .LBB26_17
; %bb.16:
	v_cvt_f32_u32_e32 v8, s19
	s_sub_i32 s2, 0, s19
	v_rcp_iflag_f32_e32 v8, v8
	v_mul_f32_e32 v8, 0x4f7ffffe, v8
	v_cvt_u32_f32_e32 v8, v8
	v_mul_lo_u32 v9, s2, v8
	v_mul_hi_u32 v9, v8, v9
	v_add_u32_e32 v8, v8, v9
	v_mul_hi_u32 v8, v4, v8
	v_mul_lo_u32 v9, v8, s19
	v_add_u32_e32 v10, 1, v8
	v_sub_u32_e32 v9, v4, v9
	v_subrev_u32_e32 v11, s19, v9
	v_cmp_le_u32_e32 vcc, s19, v9
	v_cndmask_b32_e32 v9, v9, v11, vcc
	v_cndmask_b32_e32 v8, v8, v10, vcc
	v_add_u32_e32 v10, 1, v8
	v_cmp_le_u32_e32 vcc, s19, v9
	v_cndmask_b32_e32 v8, v8, v10, vcc
	v_mov_b32_e32 v9, 0
.LBB26_17:
	s_or_b64 exec, exec, s[0:1]
	v_mul_lo_u32 v14, s18, v8
	v_mul_lo_u32 v15, s19, v9
	v_mad_u64_u32 v[10:11], s[0:1], s19, v8, 0
	v_add3_u32 v11, v11, v15, v14
	v_sub_co_u32_e32 v10, vcc, v4, v10
	v_subb_co_u32_e32 v11, vcc, v5, v11, vcc
	v_or_b32_e32 v5, s17, v11
	v_mov_b32_e32 v4, 0
	v_cmp_ne_u64_e32 vcc, 0, v[4:5]
                                        ; implicit-def: $vgpr4_vgpr5
	s_and_saveexec_b64 s[0:1], vcc
	s_xor_b64 s[2:3], exec, s[0:1]
	s_cbranch_execz .LBB26_19
; %bb.18:
	s_ashr_i32 s6, s17, 31
	s_add_u32 s0, s16, s6
	s_mov_b32 s7, s6
	s_addc_u32 s1, s17, s6
	s_xor_b64 s[12:13], s[0:1], s[6:7]
	v_cvt_f32_u32_e32 v4, s12
	v_cvt_f32_u32_e32 v5, s13
	s_sub_u32 s7, 0, s12
	s_subb_u32 s18, 0, s13
	v_ashrrev_i32_e32 v16, 31, v11
	v_madmk_f32 v4, v5, 0x4f800000, v4
	v_rcp_f32_e32 v4, v4
	v_mul_f32_e32 v4, 0x5f7ffffc, v4
	v_mul_f32_e32 v5, 0x2f800000, v4
	v_trunc_f32_e32 v5, v5
	v_madmk_f32 v4, v5, 0xcf800000, v4
	v_cvt_u32_f32_e32 v5, v5
	v_cvt_u32_f32_e32 v4, v4
	v_readfirstlane_b32 s19, v5
	v_readfirstlane_b32 s0, v4
	s_mul_i32 s1, s7, s19
	s_mul_hi_u32 s25, s7, s0
	s_mul_i32 s24, s18, s0
	s_add_i32 s1, s25, s1
	s_add_i32 s1, s1, s24
	s_mul_i32 s26, s7, s0
	s_mul_i32 s25, s0, s1
	s_mul_hi_u32 s27, s0, s26
	s_mul_hi_u32 s24, s0, s1
	s_add_u32 s25, s27, s25
	s_addc_u32 s24, 0, s24
	s_mul_hi_u32 s28, s19, s26
	s_mul_i32 s26, s19, s26
	s_add_u32 s25, s25, s26
	s_mul_hi_u32 s27, s19, s1
	s_addc_u32 s24, s24, s28
	s_addc_u32 s25, s27, 0
	s_mul_i32 s1, s19, s1
	s_add_u32 s1, s24, s1
	s_addc_u32 s24, 0, s25
	s_add_u32 s25, s0, s1
	s_cselect_b64 s[0:1], -1, 0
	s_cmp_lg_u64 s[0:1], 0
	s_addc_u32 s19, s19, s24
	s_mul_i32 s0, s7, s19
	s_mul_hi_u32 s1, s7, s25
	s_add_i32 s0, s1, s0
	s_mul_i32 s18, s18, s25
	s_add_i32 s0, s0, s18
	s_mul_i32 s7, s7, s25
	s_mul_hi_u32 s18, s19, s7
	s_mul_i32 s24, s19, s7
	s_mul_i32 s27, s25, s0
	s_mul_hi_u32 s7, s25, s7
	s_mul_hi_u32 s26, s25, s0
	s_add_u32 s7, s7, s27
	s_addc_u32 s26, 0, s26
	s_add_u32 s7, s7, s24
	s_mul_hi_u32 s1, s19, s0
	s_addc_u32 s7, s26, s18
	s_addc_u32 s1, s1, 0
	s_mul_i32 s0, s19, s0
	s_add_u32 s0, s7, s0
	s_addc_u32 s7, 0, s1
	s_add_u32 s18, s25, s0
	s_cselect_b64 s[0:1], -1, 0
	s_cmp_lg_u64 s[0:1], 0
	v_add_co_u32_e32 v4, vcc, v10, v16
	s_addc_u32 s7, s19, s7
	v_xor_b32_e32 v17, v4, v16
	v_mad_u64_u32 v[4:5], s[0:1], v17, s7, 0
	v_mul_hi_u32 v15, v17, s18
	v_addc_co_u32_e32 v14, vcc, v11, v16, vcc
	v_xor_b32_e32 v18, v14, v16
	v_add_co_u32_e32 v19, vcc, v15, v4
	v_addc_co_u32_e32 v20, vcc, 0, v5, vcc
	v_mad_u64_u32 v[4:5], s[0:1], v18, s18, 0
	v_mad_u64_u32 v[14:15], s[0:1], v18, s7, 0
	v_add_co_u32_e32 v4, vcc, v19, v4
	v_addc_co_u32_e32 v4, vcc, v20, v5, vcc
	v_addc_co_u32_e32 v5, vcc, 0, v15, vcc
	v_add_co_u32_e32 v14, vcc, v4, v14
	v_addc_co_u32_e32 v15, vcc, 0, v5, vcc
	v_mul_lo_u32 v19, s13, v14
	v_mul_lo_u32 v20, s12, v15
	v_mad_u64_u32 v[4:5], s[0:1], s12, v14, 0
	v_add3_u32 v5, v5, v20, v19
	v_sub_u32_e32 v19, v18, v5
	v_mov_b32_e32 v20, s13
	v_sub_co_u32_e32 v4, vcc, v17, v4
	v_subb_co_u32_e64 v17, s[0:1], v19, v20, vcc
	v_subrev_co_u32_e64 v19, s[0:1], s12, v4
	v_subbrev_co_u32_e64 v17, s[0:1], 0, v17, s[0:1]
	v_cmp_le_u32_e64 s[0:1], s13, v17
	v_cndmask_b32_e64 v20, 0, -1, s[0:1]
	v_cmp_le_u32_e64 s[0:1], s12, v19
	v_cndmask_b32_e64 v19, 0, -1, s[0:1]
	v_cmp_eq_u32_e64 s[0:1], s13, v17
	v_cndmask_b32_e64 v17, v20, v19, s[0:1]
	v_add_co_u32_e64 v19, s[0:1], 2, v14
	v_subb_co_u32_e32 v5, vcc, v18, v5, vcc
	v_addc_co_u32_e64 v20, s[0:1], 0, v15, s[0:1]
	v_cmp_le_u32_e32 vcc, s13, v5
	v_add_co_u32_e64 v21, s[0:1], 1, v14
	v_cndmask_b32_e64 v18, 0, -1, vcc
	v_cmp_le_u32_e32 vcc, s12, v4
	v_addc_co_u32_e64 v22, s[0:1], 0, v15, s[0:1]
	v_cndmask_b32_e64 v4, 0, -1, vcc
	v_cmp_eq_u32_e32 vcc, s13, v5
	v_cmp_ne_u32_e64 s[0:1], 0, v17
	v_cndmask_b32_e32 v4, v18, v4, vcc
	v_cndmask_b32_e64 v17, v22, v20, s[0:1]
	v_cmp_ne_u32_e32 vcc, 0, v4
	v_cndmask_b32_e64 v5, v21, v19, s[0:1]
	v_cndmask_b32_e32 v4, v15, v17, vcc
	v_cndmask_b32_e32 v5, v14, v5, vcc
	v_xor_b32_e32 v14, s6, v16
	v_xor_b32_e32 v15, v4, v14
	;; [unrolled: 1-line block ×3, first 2 shown]
	v_sub_co_u32_e32 v4, vcc, v4, v14
	v_subb_co_u32_e32 v5, vcc, v15, v14, vcc
.LBB26_19:
	s_andn2_saveexec_b64 s[0:1], s[2:3]
	s_cbranch_execz .LBB26_21
; %bb.20:
	v_cvt_f32_u32_e32 v4, s16
	s_sub_i32 s2, 0, s16
	v_rcp_iflag_f32_e32 v4, v4
	v_mul_f32_e32 v4, 0x4f7ffffe, v4
	v_cvt_u32_f32_e32 v4, v4
	v_mul_lo_u32 v5, s2, v4
	v_mul_hi_u32 v5, v4, v5
	v_add_u32_e32 v4, v4, v5
	v_mul_hi_u32 v4, v10, v4
	v_mul_lo_u32 v5, v4, s16
	v_add_u32_e32 v14, 1, v4
	v_sub_u32_e32 v5, v10, v5
	v_subrev_u32_e32 v15, s16, v5
	v_cmp_le_u32_e32 vcc, s16, v5
	v_cndmask_b32_e32 v5, v5, v15, vcc
	v_cndmask_b32_e32 v4, v4, v14, vcc
	v_add_u32_e32 v14, 1, v4
	v_cmp_le_u32_e32 vcc, s16, v5
	v_cndmask_b32_e32 v4, v4, v14, vcc
	v_mov_b32_e32 v5, 0
.LBB26_21:
	s_or_b64 exec, exec, s[0:1]
	v_mul_lo_u32 v16, s17, v4
	v_mul_lo_u32 v17, s16, v5
	v_mad_u64_u32 v[14:15], s[0:1], s16, v4, 0
	v_add3_u32 v15, v15, v17, v16
	v_sub_co_u32_e32 v14, vcc, v10, v14
	v_subb_co_u32_e32 v15, vcc, v11, v15, vcc
	v_or_b32_e32 v11, s41, v15
	v_mov_b32_e32 v10, 0
	v_cmp_ne_u64_e32 vcc, 0, v[10:11]
                                        ; implicit-def: $vgpr10_vgpr11
	s_and_saveexec_b64 s[0:1], vcc
	s_xor_b64 s[2:3], exec, s[0:1]
	s_cbranch_execz .LBB26_23
; %bb.22:
	s_ashr_i32 s6, s41, 31
	s_add_u32 s0, s40, s6
	s_mov_b32 s7, s6
	s_addc_u32 s1, s41, s6
	s_xor_b64 s[12:13], s[0:1], s[6:7]
	v_cvt_f32_u32_e32 v10, s12
	v_cvt_f32_u32_e32 v11, s13
	s_sub_u32 s7, 0, s12
	s_subb_u32 s16, 0, s13
	v_ashrrev_i32_e32 v18, 31, v15
	v_madmk_f32 v10, v11, 0x4f800000, v10
	v_rcp_f32_e32 v10, v10
	v_mul_f32_e32 v10, 0x5f7ffffc, v10
	v_mul_f32_e32 v11, 0x2f800000, v10
	v_trunc_f32_e32 v11, v11
	v_madmk_f32 v10, v11, 0xcf800000, v10
	v_cvt_u32_f32_e32 v11, v11
	v_cvt_u32_f32_e32 v10, v10
	v_readfirstlane_b32 s17, v11
	v_readfirstlane_b32 s0, v10
	s_mul_i32 s1, s7, s17
	s_mul_hi_u32 s19, s7, s0
	s_mul_i32 s18, s16, s0
	s_add_i32 s1, s19, s1
	s_add_i32 s1, s1, s18
	s_mul_i32 s24, s7, s0
	s_mul_i32 s19, s0, s1
	s_mul_hi_u32 s25, s0, s24
	s_mul_hi_u32 s18, s0, s1
	s_add_u32 s19, s25, s19
	s_addc_u32 s18, 0, s18
	s_mul_hi_u32 s26, s17, s24
	s_mul_i32 s24, s17, s24
	s_add_u32 s19, s19, s24
	s_mul_hi_u32 s25, s17, s1
	s_addc_u32 s18, s18, s26
	s_addc_u32 s19, s25, 0
	s_mul_i32 s1, s17, s1
	s_add_u32 s1, s18, s1
	s_addc_u32 s18, 0, s19
	s_add_u32 s19, s0, s1
	s_cselect_b64 s[0:1], -1, 0
	s_cmp_lg_u64 s[0:1], 0
	s_addc_u32 s17, s17, s18
	s_mul_i32 s0, s7, s17
	s_mul_hi_u32 s1, s7, s19
	s_add_i32 s0, s1, s0
	s_mul_i32 s16, s16, s19
	s_add_i32 s0, s0, s16
	s_mul_i32 s7, s7, s19
	s_mul_hi_u32 s16, s17, s7
	s_mul_i32 s18, s17, s7
	s_mul_i32 s25, s19, s0
	s_mul_hi_u32 s7, s19, s7
	s_mul_hi_u32 s24, s19, s0
	s_add_u32 s7, s7, s25
	s_addc_u32 s24, 0, s24
	s_add_u32 s7, s7, s18
	s_mul_hi_u32 s1, s17, s0
	s_addc_u32 s7, s24, s16
	s_addc_u32 s1, s1, 0
	s_mul_i32 s0, s17, s0
	s_add_u32 s0, s7, s0
	s_addc_u32 s7, 0, s1
	s_add_u32 s16, s19, s0
	s_cselect_b64 s[0:1], -1, 0
	s_cmp_lg_u64 s[0:1], 0
	v_add_co_u32_e32 v10, vcc, v14, v18
	s_addc_u32 s7, s17, s7
	v_xor_b32_e32 v19, v10, v18
	v_mad_u64_u32 v[10:11], s[0:1], v19, s7, 0
	v_mul_hi_u32 v17, v19, s16
	v_addc_co_u32_e32 v16, vcc, v15, v18, vcc
	v_xor_b32_e32 v20, v16, v18
	v_add_co_u32_e32 v21, vcc, v17, v10
	v_addc_co_u32_e32 v22, vcc, 0, v11, vcc
	v_mad_u64_u32 v[10:11], s[0:1], v20, s16, 0
	v_mad_u64_u32 v[16:17], s[0:1], v20, s7, 0
	v_add_co_u32_e32 v10, vcc, v21, v10
	v_addc_co_u32_e32 v10, vcc, v22, v11, vcc
	v_addc_co_u32_e32 v11, vcc, 0, v17, vcc
	v_add_co_u32_e32 v16, vcc, v10, v16
	v_addc_co_u32_e32 v17, vcc, 0, v11, vcc
	v_mul_lo_u32 v21, s13, v16
	v_mul_lo_u32 v22, s12, v17
	v_mad_u64_u32 v[10:11], s[0:1], s12, v16, 0
	v_add3_u32 v11, v11, v22, v21
	v_sub_u32_e32 v21, v20, v11
	v_mov_b32_e32 v22, s13
	v_sub_co_u32_e32 v10, vcc, v19, v10
	v_subb_co_u32_e64 v19, s[0:1], v21, v22, vcc
	v_subrev_co_u32_e64 v21, s[0:1], s12, v10
	v_subbrev_co_u32_e64 v19, s[0:1], 0, v19, s[0:1]
	v_cmp_le_u32_e64 s[0:1], s13, v19
	v_cndmask_b32_e64 v22, 0, -1, s[0:1]
	v_cmp_le_u32_e64 s[0:1], s12, v21
	v_cndmask_b32_e64 v21, 0, -1, s[0:1]
	v_cmp_eq_u32_e64 s[0:1], s13, v19
	v_cndmask_b32_e64 v19, v22, v21, s[0:1]
	v_add_co_u32_e64 v21, s[0:1], 2, v16
	v_subb_co_u32_e32 v11, vcc, v20, v11, vcc
	v_addc_co_u32_e64 v22, s[0:1], 0, v17, s[0:1]
	v_cmp_le_u32_e32 vcc, s13, v11
	v_add_co_u32_e64 v23, s[0:1], 1, v16
	v_cndmask_b32_e64 v20, 0, -1, vcc
	v_cmp_le_u32_e32 vcc, s12, v10
	v_addc_co_u32_e64 v24, s[0:1], 0, v17, s[0:1]
	v_cndmask_b32_e64 v10, 0, -1, vcc
	v_cmp_eq_u32_e32 vcc, s13, v11
	v_cmp_ne_u32_e64 s[0:1], 0, v19
	v_cndmask_b32_e32 v10, v20, v10, vcc
	v_cndmask_b32_e64 v19, v24, v22, s[0:1]
	v_cmp_ne_u32_e32 vcc, 0, v10
	v_cndmask_b32_e64 v11, v23, v21, s[0:1]
	v_cndmask_b32_e32 v10, v17, v19, vcc
	v_cndmask_b32_e32 v11, v16, v11, vcc
	v_xor_b32_e32 v16, s6, v18
	v_xor_b32_e32 v17, v10, v16
	;; [unrolled: 1-line block ×3, first 2 shown]
	v_sub_co_u32_e32 v10, vcc, v10, v16
	v_subb_co_u32_e32 v11, vcc, v17, v16, vcc
.LBB26_23:
	s_andn2_saveexec_b64 s[0:1], s[2:3]
	s_cbranch_execz .LBB26_25
; %bb.24:
	v_cvt_f32_u32_e32 v10, s40
	s_sub_i32 s2, 0, s40
	v_rcp_iflag_f32_e32 v10, v10
	v_mul_f32_e32 v10, 0x4f7ffffe, v10
	v_cvt_u32_f32_e32 v10, v10
	v_mul_lo_u32 v11, s2, v10
	v_mul_hi_u32 v11, v10, v11
	v_add_u32_e32 v10, v10, v11
	v_mul_hi_u32 v10, v14, v10
	v_mul_lo_u32 v11, v10, s40
	v_add_u32_e32 v16, 1, v10
	v_sub_u32_e32 v11, v14, v11
	v_subrev_u32_e32 v17, s40, v11
	v_cmp_le_u32_e32 vcc, s40, v11
	v_cndmask_b32_e32 v11, v11, v17, vcc
	v_cndmask_b32_e32 v10, v10, v16, vcc
	v_add_u32_e32 v16, 1, v10
	v_cmp_le_u32_e32 vcc, s40, v11
	v_cndmask_b32_e32 v10, v10, v16, vcc
	v_mov_b32_e32 v11, 0
.LBB26_25:
	s_or_b64 exec, exec, s[0:1]
	v_mul_lo_u32 v18, v7, s14
	v_mul_lo_u32 v19, v6, s15
	v_mad_u64_u32 v[16:17], s[0:1], v6, s14, 0
	v_mul_lo_u32 v7, v7, s22
	v_mul_lo_u32 v3, v3, s36
	v_add3_u32 v17, v17, v19, v18
	v_sub_co_u32_e32 v16, vcc, v12, v16
	v_subb_co_u32_e32 v17, vcc, v13, v17, vcc
	v_mov_b32_e32 v12, s8
	v_mov_b32_e32 v13, s9
	v_mul_lo_u32 v18, v16, s21
	v_mul_lo_u32 v17, v17, s20
	v_mad_u64_u32 v[12:13], s[0:1], v16, s20, v[12:13]
	v_mul_lo_u32 v1, v1, s38
	v_add3_u32 v13, v17, v13, v18
	v_mad_u64_u32 v[12:13], s[0:1], v6, s22, v[12:13]
	v_mul_lo_u32 v6, v6, s23
	v_add3_u32 v13, v7, v13, v6
	v_mad_u64_u32 v[6:7], s[0:1], v2, s36, v[12:13]
	v_mul_lo_u32 v2, v2, s37
	v_mul_lo_u32 v12, v10, s41
	v_add3_u32 v7, v3, v7, v2
	v_mad_u64_u32 v[2:3], s[0:1], v0, s38, v[6:7]
	v_mul_lo_u32 v0, v0, s39
	v_mul_lo_u32 v7, v11, s40
	v_add3_u32 v3, v1, v3, v0
	global_load_ushort v6, v[2:3], off
	v_mad_u64_u32 v[0:1], s[0:1], v10, s40, 0
	v_mov_b32_e32 v2, s10
	v_mov_b32_e32 v3, s11
	v_add3_u32 v1, v1, v12, v7
	v_sub_co_u32_e32 v0, vcc, v14, v0
	v_subb_co_u32_e32 v1, vcc, v15, v1, vcc
	v_mul_lo_u32 v7, v0, s47
	v_mul_lo_u32 v12, v1, s46
	v_mad_u64_u32 v[0:1], s[0:1], v0, s46, v[2:3]
	v_mul_lo_u32 v2, v10, s49
	v_mul_lo_u32 v3, v11, s48
	v_add3_u32 v1, v12, v1, v7
	v_mad_u64_u32 v[0:1], s[0:1], v10, s48, v[0:1]
	v_add3_u32 v1, v3, v1, v2
	v_mad_u64_u32 v[0:1], s[0:1], v4, s50, v[0:1]
	v_mul_lo_u32 v2, v4, s51
	v_mul_lo_u32 v3, v5, s50
	s_load_dwordx2 s[0:1], s[4:5], 0x80
	v_add3_u32 v1, v3, v1, v2
	s_waitcnt lgkmcnt(0)
	v_mad_u64_u32 v[0:1], s[2:3], v8, s0, v[0:1]
	v_mul_lo_u32 v2, v8, s1
	v_mul_lo_u32 v3, v9, s0
	v_add3_u32 v1, v3, v1, v2
	s_waitcnt vmcnt(0)
	v_lshlrev_b32_e32 v4, 16, v6
	v_cvt_f16_f32_e32 v4, v4
	global_store_short v[0:1], v4, off
.LBB26_26:
	s_endpgm
	.section	.rodata,"a",@progbits
	.p2align	6, 0x0
	.amdhsa_kernel _ZL10cpy_scalarIXadL_ZL12cpy_1_scalarI14__hip_bfloat166__halfEvPKcPcEEEvS4_S5_lllllllllllllll
		.amdhsa_group_segment_fixed_size 0
		.amdhsa_private_segment_fixed_size 0
		.amdhsa_kernarg_size 392
		.amdhsa_user_sgpr_count 6
		.amdhsa_user_sgpr_private_segment_buffer 1
		.amdhsa_user_sgpr_dispatch_ptr 0
		.amdhsa_user_sgpr_queue_ptr 0
		.amdhsa_user_sgpr_kernarg_segment_ptr 1
		.amdhsa_user_sgpr_dispatch_id 0
		.amdhsa_user_sgpr_flat_scratch_init 0
		.amdhsa_user_sgpr_private_segment_size 0
		.amdhsa_uses_dynamic_stack 0
		.amdhsa_system_sgpr_private_segment_wavefront_offset 0
		.amdhsa_system_sgpr_workgroup_id_x 1
		.amdhsa_system_sgpr_workgroup_id_y 0
		.amdhsa_system_sgpr_workgroup_id_z 0
		.amdhsa_system_sgpr_workgroup_info 0
		.amdhsa_system_vgpr_workitem_id 0
		.amdhsa_next_free_vgpr 25
		.amdhsa_next_free_sgpr 52
		.amdhsa_reserve_vcc 1
		.amdhsa_reserve_flat_scratch 0
		.amdhsa_float_round_mode_32 0
		.amdhsa_float_round_mode_16_64 0
		.amdhsa_float_denorm_mode_32 3
		.amdhsa_float_denorm_mode_16_64 3
		.amdhsa_dx10_clamp 1
		.amdhsa_ieee_mode 1
		.amdhsa_fp16_overflow 0
		.amdhsa_exception_fp_ieee_invalid_op 0
		.amdhsa_exception_fp_denorm_src 0
		.amdhsa_exception_fp_ieee_div_zero 0
		.amdhsa_exception_fp_ieee_overflow 0
		.amdhsa_exception_fp_ieee_underflow 0
		.amdhsa_exception_fp_ieee_inexact 0
		.amdhsa_exception_int_div_zero 0
	.end_amdhsa_kernel
	.section	.text._ZL10cpy_scalarIXadL_ZL12cpy_1_scalarI14__hip_bfloat166__halfEvPKcPcEEEvS4_S5_lllllllllllllll,"axG",@progbits,_ZL10cpy_scalarIXadL_ZL12cpy_1_scalarI14__hip_bfloat166__halfEvPKcPcEEEvS4_S5_lllllllllllllll,comdat
.Lfunc_end26:
	.size	_ZL10cpy_scalarIXadL_ZL12cpy_1_scalarI14__hip_bfloat166__halfEvPKcPcEEEvS4_S5_lllllllllllllll, .Lfunc_end26-_ZL10cpy_scalarIXadL_ZL12cpy_1_scalarI14__hip_bfloat166__halfEvPKcPcEEEvS4_S5_lllllllllllllll
                                        ; -- End function
	.set _ZL10cpy_scalarIXadL_ZL12cpy_1_scalarI14__hip_bfloat166__halfEvPKcPcEEEvS4_S5_lllllllllllllll.num_vgpr, 25
	.set _ZL10cpy_scalarIXadL_ZL12cpy_1_scalarI14__hip_bfloat166__halfEvPKcPcEEEvS4_S5_lllllllllllllll.num_agpr, 0
	.set _ZL10cpy_scalarIXadL_ZL12cpy_1_scalarI14__hip_bfloat166__halfEvPKcPcEEEvS4_S5_lllllllllllllll.numbered_sgpr, 52
	.set _ZL10cpy_scalarIXadL_ZL12cpy_1_scalarI14__hip_bfloat166__halfEvPKcPcEEEvS4_S5_lllllllllllllll.num_named_barrier, 0
	.set _ZL10cpy_scalarIXadL_ZL12cpy_1_scalarI14__hip_bfloat166__halfEvPKcPcEEEvS4_S5_lllllllllllllll.private_seg_size, 0
	.set _ZL10cpy_scalarIXadL_ZL12cpy_1_scalarI14__hip_bfloat166__halfEvPKcPcEEEvS4_S5_lllllllllllllll.uses_vcc, 1
	.set _ZL10cpy_scalarIXadL_ZL12cpy_1_scalarI14__hip_bfloat166__halfEvPKcPcEEEvS4_S5_lllllllllllllll.uses_flat_scratch, 0
	.set _ZL10cpy_scalarIXadL_ZL12cpy_1_scalarI14__hip_bfloat166__halfEvPKcPcEEEvS4_S5_lllllllllllllll.has_dyn_sized_stack, 0
	.set _ZL10cpy_scalarIXadL_ZL12cpy_1_scalarI14__hip_bfloat166__halfEvPKcPcEEEvS4_S5_lllllllllllllll.has_recursion, 0
	.set _ZL10cpy_scalarIXadL_ZL12cpy_1_scalarI14__hip_bfloat166__halfEvPKcPcEEEvS4_S5_lllllllllllllll.has_indirect_call, 0
	.section	.AMDGPU.csdata,"",@progbits
; Kernel info:
; codeLenInByte = 5204
; TotalNumSgprs: 56
; NumVgprs: 25
; ScratchSize: 0
; MemoryBound: 0
; FloatMode: 240
; IeeeMode: 1
; LDSByteSize: 0 bytes/workgroup (compile time only)
; SGPRBlocks: 6
; VGPRBlocks: 6
; NumSGPRsForWavesPerEU: 56
; NumVGPRsForWavesPerEU: 25
; Occupancy: 9
; WaveLimiterHint : 0
; COMPUTE_PGM_RSRC2:SCRATCH_EN: 0
; COMPUTE_PGM_RSRC2:USER_SGPR: 6
; COMPUTE_PGM_RSRC2:TRAP_HANDLER: 0
; COMPUTE_PGM_RSRC2:TGID_X_EN: 1
; COMPUTE_PGM_RSRC2:TGID_Y_EN: 0
; COMPUTE_PGM_RSRC2:TGID_Z_EN: 0
; COMPUTE_PGM_RSRC2:TIDIG_COMP_CNT: 0
	.section	.text._ZL21cpy_scalar_contiguousI14__hip_bfloat16fEvPKcPcl,"axG",@progbits,_ZL21cpy_scalar_contiguousI14__hip_bfloat16fEvPKcPcl,comdat
	.globl	_ZL21cpy_scalar_contiguousI14__hip_bfloat16fEvPKcPcl ; -- Begin function _ZL21cpy_scalar_contiguousI14__hip_bfloat16fEvPKcPcl
	.p2align	8
	.type	_ZL21cpy_scalar_contiguousI14__hip_bfloat16fEvPKcPcl,@function
_ZL21cpy_scalar_contiguousI14__hip_bfloat16fEvPKcPcl: ; @_ZL21cpy_scalar_contiguousI14__hip_bfloat16fEvPKcPcl
; %bb.0:
	s_load_dword s2, s[4:5], 0x24
	s_load_dwordx2 s[0:1], s[4:5], 0x10
	v_mov_b32_e32 v1, 0
	v_mov_b32_e32 v2, s6
	s_waitcnt lgkmcnt(0)
	s_and_b32 s2, s2, 0xffff
	v_mad_u64_u32 v[0:1], s[2:3], s2, v2, v[0:1]
	v_cmp_gt_i64_e32 vcc, s[0:1], v[0:1]
	s_and_saveexec_b64 s[0:1], vcc
	s_cbranch_execz .LBB27_2
; %bb.1:
	s_load_dwordx4 s[0:3], s[4:5], 0x0
	v_lshlrev_b64 v[2:3], 1, v[0:1]
	v_lshlrev_b64 v[0:1], 2, v[0:1]
	s_waitcnt lgkmcnt(0)
	v_mov_b32_e32 v4, s1
	v_add_co_u32_e32 v2, vcc, s0, v2
	v_addc_co_u32_e32 v3, vcc, v4, v3, vcc
	global_load_ushort v2, v[2:3], off
	v_mov_b32_e32 v3, s3
	v_add_co_u32_e32 v0, vcc, s2, v0
	v_addc_co_u32_e32 v1, vcc, v3, v1, vcc
	s_waitcnt vmcnt(0)
	v_lshlrev_b32_e32 v2, 16, v2
	global_store_dword v[0:1], v2, off
.LBB27_2:
	s_endpgm
	.section	.rodata,"a",@progbits
	.p2align	6, 0x0
	.amdhsa_kernel _ZL21cpy_scalar_contiguousI14__hip_bfloat16fEvPKcPcl
		.amdhsa_group_segment_fixed_size 0
		.amdhsa_private_segment_fixed_size 0
		.amdhsa_kernarg_size 280
		.amdhsa_user_sgpr_count 6
		.amdhsa_user_sgpr_private_segment_buffer 1
		.amdhsa_user_sgpr_dispatch_ptr 0
		.amdhsa_user_sgpr_queue_ptr 0
		.amdhsa_user_sgpr_kernarg_segment_ptr 1
		.amdhsa_user_sgpr_dispatch_id 0
		.amdhsa_user_sgpr_flat_scratch_init 0
		.amdhsa_user_sgpr_private_segment_size 0
		.amdhsa_uses_dynamic_stack 0
		.amdhsa_system_sgpr_private_segment_wavefront_offset 0
		.amdhsa_system_sgpr_workgroup_id_x 1
		.amdhsa_system_sgpr_workgroup_id_y 0
		.amdhsa_system_sgpr_workgroup_id_z 0
		.amdhsa_system_sgpr_workgroup_info 0
		.amdhsa_system_vgpr_workitem_id 0
		.amdhsa_next_free_vgpr 5
		.amdhsa_next_free_sgpr 7
		.amdhsa_reserve_vcc 1
		.amdhsa_reserve_flat_scratch 0
		.amdhsa_float_round_mode_32 0
		.amdhsa_float_round_mode_16_64 0
		.amdhsa_float_denorm_mode_32 3
		.amdhsa_float_denorm_mode_16_64 3
		.amdhsa_dx10_clamp 1
		.amdhsa_ieee_mode 1
		.amdhsa_fp16_overflow 0
		.amdhsa_exception_fp_ieee_invalid_op 0
		.amdhsa_exception_fp_denorm_src 0
		.amdhsa_exception_fp_ieee_div_zero 0
		.amdhsa_exception_fp_ieee_overflow 0
		.amdhsa_exception_fp_ieee_underflow 0
		.amdhsa_exception_fp_ieee_inexact 0
		.amdhsa_exception_int_div_zero 0
	.end_amdhsa_kernel
	.section	.text._ZL21cpy_scalar_contiguousI14__hip_bfloat16fEvPKcPcl,"axG",@progbits,_ZL21cpy_scalar_contiguousI14__hip_bfloat16fEvPKcPcl,comdat
.Lfunc_end27:
	.size	_ZL21cpy_scalar_contiguousI14__hip_bfloat16fEvPKcPcl, .Lfunc_end27-_ZL21cpy_scalar_contiguousI14__hip_bfloat16fEvPKcPcl
                                        ; -- End function
	.set _ZL21cpy_scalar_contiguousI14__hip_bfloat16fEvPKcPcl.num_vgpr, 5
	.set _ZL21cpy_scalar_contiguousI14__hip_bfloat16fEvPKcPcl.num_agpr, 0
	.set _ZL21cpy_scalar_contiguousI14__hip_bfloat16fEvPKcPcl.numbered_sgpr, 7
	.set _ZL21cpy_scalar_contiguousI14__hip_bfloat16fEvPKcPcl.num_named_barrier, 0
	.set _ZL21cpy_scalar_contiguousI14__hip_bfloat16fEvPKcPcl.private_seg_size, 0
	.set _ZL21cpy_scalar_contiguousI14__hip_bfloat16fEvPKcPcl.uses_vcc, 1
	.set _ZL21cpy_scalar_contiguousI14__hip_bfloat16fEvPKcPcl.uses_flat_scratch, 0
	.set _ZL21cpy_scalar_contiguousI14__hip_bfloat16fEvPKcPcl.has_dyn_sized_stack, 0
	.set _ZL21cpy_scalar_contiguousI14__hip_bfloat16fEvPKcPcl.has_recursion, 0
	.set _ZL21cpy_scalar_contiguousI14__hip_bfloat16fEvPKcPcl.has_indirect_call, 0
	.section	.AMDGPU.csdata,"",@progbits
; Kernel info:
; codeLenInByte = 136
; TotalNumSgprs: 11
; NumVgprs: 5
; ScratchSize: 0
; MemoryBound: 0
; FloatMode: 240
; IeeeMode: 1
; LDSByteSize: 0 bytes/workgroup (compile time only)
; SGPRBlocks: 1
; VGPRBlocks: 1
; NumSGPRsForWavesPerEU: 11
; NumVGPRsForWavesPerEU: 5
; Occupancy: 10
; WaveLimiterHint : 0
; COMPUTE_PGM_RSRC2:SCRATCH_EN: 0
; COMPUTE_PGM_RSRC2:USER_SGPR: 6
; COMPUTE_PGM_RSRC2:TRAP_HANDLER: 0
; COMPUTE_PGM_RSRC2:TGID_X_EN: 1
; COMPUTE_PGM_RSRC2:TGID_Y_EN: 0
; COMPUTE_PGM_RSRC2:TGID_Z_EN: 0
; COMPUTE_PGM_RSRC2:TIDIG_COMP_CNT: 0
	.section	.text._ZL10cpy_scalarIXadL_ZL12cpy_1_scalarI14__hip_bfloat16fEvPKcPcEEEvS3_S4_lllllllllllllll,"axG",@progbits,_ZL10cpy_scalarIXadL_ZL12cpy_1_scalarI14__hip_bfloat16fEvPKcPcEEEvS3_S4_lllllllllllllll,comdat
	.globl	_ZL10cpy_scalarIXadL_ZL12cpy_1_scalarI14__hip_bfloat16fEvPKcPcEEEvS3_S4_lllllllllllllll ; -- Begin function _ZL10cpy_scalarIXadL_ZL12cpy_1_scalarI14__hip_bfloat16fEvPKcPcEEEvS3_S4_lllllllllllllll
	.p2align	8
	.type	_ZL10cpy_scalarIXadL_ZL12cpy_1_scalarI14__hip_bfloat16fEvPKcPcEEEvS3_S4_lllllllllllllll,@function
_ZL10cpy_scalarIXadL_ZL12cpy_1_scalarI14__hip_bfloat16fEvPKcPcEEEvS3_S4_lllllllllllllll: ; @_ZL10cpy_scalarIXadL_ZL12cpy_1_scalarI14__hip_bfloat16fEvPKcPcEEEvS3_S4_lllllllllllllll
; %bb.0:
	s_load_dword s0, s[4:5], 0x94
	v_mov_b32_e32 v2, 0
	s_load_dwordx16 s[8:23], s[4:5], 0x0
	v_mov_b32_e32 v1, v2
	v_mov_b32_e32 v3, s6
	s_waitcnt lgkmcnt(0)
	s_and_b32 s0, s0, 0xffff
	v_mad_u64_u32 v[4:5], s[0:1], s0, v3, v[0:1]
	v_cmp_gt_i64_e32 vcc, s[12:13], v[4:5]
	s_and_saveexec_b64 s[0:1], vcc
	s_cbranch_execz .LBB28_26
; %bb.1:
	s_mul_i32 s0, s16, s15
	s_mul_hi_u32 s1, s16, s14
	s_add_i32 s0, s1, s0
	s_mul_i32 s1, s17, s14
	s_mul_i32 s16, s16, s14
	s_add_i32 s17, s0, s1
	s_mul_i32 s0, s16, s19
	s_mul_hi_u32 s1, s16, s18
	s_add_i32 s0, s1, s0
	s_mul_i32 s1, s17, s18
	s_add_i32 s19, s0, s1
	v_or_b32_e32 v3, s19, v5
	v_cmp_ne_u64_e32 vcc, 0, v[2:3]
	s_mul_i32 s18, s16, s18
	v_ashrrev_i32_e32 v10, 31, v5
                                        ; implicit-def: $vgpr0_vgpr1
	s_and_saveexec_b64 s[0:1], vcc
	s_xor_b64 s[2:3], exec, s[0:1]
	s_cbranch_execz .LBB28_3
; %bb.2:
	s_ashr_i32 s6, s19, 31
	s_add_u32 s0, s18, s6
	s_mov_b32 s7, s6
	s_addc_u32 s1, s19, s6
	s_xor_b64 s[12:13], s[0:1], s[6:7]
	v_cvt_f32_u32_e32 v0, s12
	v_cvt_f32_u32_e32 v1, s13
	s_sub_u32 s7, 0, s12
	s_subb_u32 s24, 0, s13
	v_madmk_f32 v0, v1, 0x4f800000, v0
	v_rcp_f32_e32 v0, v0
	v_mul_f32_e32 v0, 0x5f7ffffc, v0
	v_mul_f32_e32 v1, 0x2f800000, v0
	v_trunc_f32_e32 v1, v1
	v_madmk_f32 v0, v1, 0xcf800000, v0
	v_cvt_u32_f32_e32 v1, v1
	v_cvt_u32_f32_e32 v0, v0
	v_readfirstlane_b32 s25, v1
	v_readfirstlane_b32 s0, v0
	s_mul_i32 s1, s7, s25
	s_mul_hi_u32 s27, s7, s0
	s_mul_i32 s26, s24, s0
	s_add_i32 s1, s27, s1
	s_add_i32 s1, s1, s26
	s_mul_i32 s28, s7, s0
	s_mul_i32 s27, s0, s1
	s_mul_hi_u32 s29, s0, s28
	s_mul_hi_u32 s26, s0, s1
	s_add_u32 s27, s29, s27
	s_addc_u32 s26, 0, s26
	s_mul_hi_u32 s30, s25, s28
	s_mul_i32 s28, s25, s28
	s_add_u32 s27, s27, s28
	s_mul_hi_u32 s29, s25, s1
	s_addc_u32 s26, s26, s30
	s_addc_u32 s27, s29, 0
	s_mul_i32 s1, s25, s1
	s_add_u32 s1, s26, s1
	s_addc_u32 s26, 0, s27
	s_add_u32 s27, s0, s1
	s_cselect_b64 s[0:1], -1, 0
	s_cmp_lg_u64 s[0:1], 0
	s_addc_u32 s25, s25, s26
	s_mul_i32 s0, s7, s25
	s_mul_hi_u32 s1, s7, s27
	s_add_i32 s0, s1, s0
	s_mul_i32 s24, s24, s27
	s_add_i32 s0, s0, s24
	s_mul_i32 s7, s7, s27
	s_mul_hi_u32 s24, s25, s7
	s_mul_i32 s26, s25, s7
	s_mul_i32 s29, s27, s0
	s_mul_hi_u32 s7, s27, s7
	s_mul_hi_u32 s28, s27, s0
	s_add_u32 s7, s7, s29
	s_addc_u32 s28, 0, s28
	s_add_u32 s7, s7, s26
	s_mul_hi_u32 s1, s25, s0
	s_addc_u32 s7, s28, s24
	s_addc_u32 s1, s1, 0
	s_mul_i32 s0, s25, s0
	s_add_u32 s0, s7, s0
	s_addc_u32 s7, 0, s1
	s_add_u32 s24, s27, s0
	s_cselect_b64 s[0:1], -1, 0
	s_cmp_lg_u64 s[0:1], 0
	v_add_co_u32_e32 v0, vcc, v4, v10
	s_addc_u32 s7, s25, s7
	v_xor_b32_e32 v6, v0, v10
	v_mad_u64_u32 v[0:1], s[0:1], v6, s7, 0
	v_mul_hi_u32 v3, v6, s24
	v_addc_co_u32_e32 v2, vcc, v5, v10, vcc
	v_xor_b32_e32 v7, v2, v10
	v_add_co_u32_e32 v8, vcc, v3, v0
	v_addc_co_u32_e32 v9, vcc, 0, v1, vcc
	v_mad_u64_u32 v[0:1], s[0:1], v7, s24, 0
	v_mad_u64_u32 v[2:3], s[0:1], v7, s7, 0
	v_add_co_u32_e32 v0, vcc, v8, v0
	v_addc_co_u32_e32 v0, vcc, v9, v1, vcc
	v_addc_co_u32_e32 v1, vcc, 0, v3, vcc
	v_add_co_u32_e32 v2, vcc, v0, v2
	v_addc_co_u32_e32 v3, vcc, 0, v1, vcc
	v_mul_lo_u32 v8, s13, v2
	v_mul_lo_u32 v9, s12, v3
	v_mad_u64_u32 v[0:1], s[0:1], s12, v2, 0
	v_add3_u32 v1, v1, v9, v8
	v_sub_u32_e32 v8, v7, v1
	v_mov_b32_e32 v9, s13
	v_sub_co_u32_e32 v0, vcc, v6, v0
	v_subb_co_u32_e64 v6, s[0:1], v8, v9, vcc
	v_subrev_co_u32_e64 v8, s[0:1], s12, v0
	v_subbrev_co_u32_e64 v6, s[0:1], 0, v6, s[0:1]
	v_cmp_le_u32_e64 s[0:1], s13, v6
	v_cndmask_b32_e64 v9, 0, -1, s[0:1]
	v_cmp_le_u32_e64 s[0:1], s12, v8
	v_cndmask_b32_e64 v8, 0, -1, s[0:1]
	v_cmp_eq_u32_e64 s[0:1], s13, v6
	v_cndmask_b32_e64 v6, v9, v8, s[0:1]
	v_add_co_u32_e64 v8, s[0:1], 2, v2
	v_subb_co_u32_e32 v1, vcc, v7, v1, vcc
	v_addc_co_u32_e64 v9, s[0:1], 0, v3, s[0:1]
	v_cmp_le_u32_e32 vcc, s13, v1
	v_add_co_u32_e64 v11, s[0:1], 1, v2
	v_cndmask_b32_e64 v7, 0, -1, vcc
	v_cmp_le_u32_e32 vcc, s12, v0
	v_addc_co_u32_e64 v12, s[0:1], 0, v3, s[0:1]
	v_cndmask_b32_e64 v0, 0, -1, vcc
	v_cmp_eq_u32_e32 vcc, s13, v1
	v_cmp_ne_u32_e64 s[0:1], 0, v6
	v_cndmask_b32_e32 v0, v7, v0, vcc
	v_cndmask_b32_e64 v6, v12, v9, s[0:1]
	v_cmp_ne_u32_e32 vcc, 0, v0
	v_cndmask_b32_e64 v1, v11, v8, s[0:1]
	v_cndmask_b32_e32 v0, v3, v6, vcc
	v_cndmask_b32_e32 v1, v2, v1, vcc
	v_xor_b32_e32 v2, s6, v10
	v_xor_b32_e32 v3, v0, v2
	;; [unrolled: 1-line block ×3, first 2 shown]
	v_sub_co_u32_e32 v0, vcc, v0, v2
	v_subb_co_u32_e32 v1, vcc, v3, v2, vcc
.LBB28_3:
	s_andn2_saveexec_b64 s[0:1], s[2:3]
	s_cbranch_execz .LBB28_5
; %bb.4:
	v_cvt_f32_u32_e32 v0, s18
	s_sub_i32 s2, 0, s18
	v_rcp_iflag_f32_e32 v0, v0
	v_mul_f32_e32 v0, 0x4f7ffffe, v0
	v_cvt_u32_f32_e32 v0, v0
	v_mul_lo_u32 v1, s2, v0
	v_mul_hi_u32 v1, v0, v1
	v_add_u32_e32 v0, v0, v1
	v_mul_hi_u32 v0, v4, v0
	v_mul_lo_u32 v1, v0, s18
	v_add_u32_e32 v2, 1, v0
	v_sub_u32_e32 v1, v4, v1
	v_subrev_u32_e32 v3, s18, v1
	v_cmp_le_u32_e32 vcc, s18, v1
	v_cndmask_b32_e32 v1, v1, v3, vcc
	v_cndmask_b32_e32 v0, v0, v2, vcc
	v_add_u32_e32 v2, 1, v0
	v_cmp_le_u32_e32 vcc, s18, v1
	v_cndmask_b32_e32 v0, v0, v2, vcc
	v_mov_b32_e32 v1, 0
.LBB28_5:
	s_or_b64 exec, exec, s[0:1]
	v_mul_lo_u32 v6, s19, v0
	v_mul_lo_u32 v7, s18, v1
	v_mad_u64_u32 v[2:3], s[0:1], s18, v0, 0
	v_add3_u32 v3, v3, v7, v6
	v_sub_co_u32_e32 v6, vcc, v4, v2
	v_subb_co_u32_e32 v7, vcc, v5, v3, vcc
	v_or_b32_e32 v3, s17, v7
	v_mov_b32_e32 v2, 0
	v_cmp_ne_u64_e32 vcc, 0, v[2:3]
                                        ; implicit-def: $vgpr2_vgpr3
	s_and_saveexec_b64 s[0:1], vcc
	s_xor_b64 s[2:3], exec, s[0:1]
	s_cbranch_execz .LBB28_7
; %bb.6:
	s_ashr_i32 s6, s17, 31
	s_add_u32 s0, s16, s6
	s_mov_b32 s7, s6
	s_addc_u32 s1, s17, s6
	s_xor_b64 s[12:13], s[0:1], s[6:7]
	v_cvt_f32_u32_e32 v2, s12
	v_cvt_f32_u32_e32 v3, s13
	s_sub_u32 s7, 0, s12
	s_subb_u32 s18, 0, s13
	v_ashrrev_i32_e32 v11, 31, v7
	v_madmk_f32 v2, v3, 0x4f800000, v2
	v_rcp_f32_e32 v2, v2
	v_mul_f32_e32 v2, 0x5f7ffffc, v2
	v_mul_f32_e32 v3, 0x2f800000, v2
	v_trunc_f32_e32 v3, v3
	v_madmk_f32 v2, v3, 0xcf800000, v2
	v_cvt_u32_f32_e32 v3, v3
	v_cvt_u32_f32_e32 v2, v2
	v_readfirstlane_b32 s19, v3
	v_readfirstlane_b32 s0, v2
	s_mul_i32 s1, s7, s19
	s_mul_hi_u32 s25, s7, s0
	s_mul_i32 s24, s18, s0
	s_add_i32 s1, s25, s1
	s_add_i32 s1, s1, s24
	s_mul_i32 s26, s7, s0
	s_mul_i32 s25, s0, s1
	s_mul_hi_u32 s27, s0, s26
	s_mul_hi_u32 s24, s0, s1
	s_add_u32 s25, s27, s25
	s_addc_u32 s24, 0, s24
	s_mul_hi_u32 s28, s19, s26
	s_mul_i32 s26, s19, s26
	s_add_u32 s25, s25, s26
	s_mul_hi_u32 s27, s19, s1
	s_addc_u32 s24, s24, s28
	s_addc_u32 s25, s27, 0
	s_mul_i32 s1, s19, s1
	s_add_u32 s1, s24, s1
	s_addc_u32 s24, 0, s25
	s_add_u32 s25, s0, s1
	s_cselect_b64 s[0:1], -1, 0
	s_cmp_lg_u64 s[0:1], 0
	s_addc_u32 s19, s19, s24
	s_mul_i32 s0, s7, s19
	s_mul_hi_u32 s1, s7, s25
	s_add_i32 s0, s1, s0
	s_mul_i32 s18, s18, s25
	s_add_i32 s0, s0, s18
	s_mul_i32 s7, s7, s25
	s_mul_hi_u32 s18, s19, s7
	s_mul_i32 s24, s19, s7
	s_mul_i32 s27, s25, s0
	s_mul_hi_u32 s7, s25, s7
	s_mul_hi_u32 s26, s25, s0
	s_add_u32 s7, s7, s27
	s_addc_u32 s26, 0, s26
	s_add_u32 s7, s7, s24
	s_mul_hi_u32 s1, s19, s0
	s_addc_u32 s7, s26, s18
	s_addc_u32 s1, s1, 0
	s_mul_i32 s0, s19, s0
	s_add_u32 s0, s7, s0
	s_addc_u32 s7, 0, s1
	s_add_u32 s18, s25, s0
	s_cselect_b64 s[0:1], -1, 0
	s_cmp_lg_u64 s[0:1], 0
	v_add_co_u32_e32 v2, vcc, v6, v11
	s_addc_u32 s7, s19, s7
	v_xor_b32_e32 v12, v2, v11
	v_mad_u64_u32 v[2:3], s[0:1], v12, s7, 0
	v_mul_hi_u32 v9, v12, s18
	v_addc_co_u32_e32 v8, vcc, v7, v11, vcc
	v_xor_b32_e32 v13, v8, v11
	v_add_co_u32_e32 v14, vcc, v9, v2
	v_addc_co_u32_e32 v15, vcc, 0, v3, vcc
	v_mad_u64_u32 v[2:3], s[0:1], v13, s18, 0
	v_mad_u64_u32 v[8:9], s[0:1], v13, s7, 0
	v_add_co_u32_e32 v2, vcc, v14, v2
	v_addc_co_u32_e32 v2, vcc, v15, v3, vcc
	v_addc_co_u32_e32 v3, vcc, 0, v9, vcc
	v_add_co_u32_e32 v8, vcc, v2, v8
	v_addc_co_u32_e32 v9, vcc, 0, v3, vcc
	v_mul_lo_u32 v14, s13, v8
	v_mul_lo_u32 v15, s12, v9
	v_mad_u64_u32 v[2:3], s[0:1], s12, v8, 0
	v_add3_u32 v3, v3, v15, v14
	v_sub_u32_e32 v14, v13, v3
	v_mov_b32_e32 v15, s13
	v_sub_co_u32_e32 v2, vcc, v12, v2
	v_subb_co_u32_e64 v12, s[0:1], v14, v15, vcc
	v_subrev_co_u32_e64 v14, s[0:1], s12, v2
	v_subbrev_co_u32_e64 v12, s[0:1], 0, v12, s[0:1]
	v_cmp_le_u32_e64 s[0:1], s13, v12
	v_cndmask_b32_e64 v15, 0, -1, s[0:1]
	v_cmp_le_u32_e64 s[0:1], s12, v14
	v_cndmask_b32_e64 v14, 0, -1, s[0:1]
	v_cmp_eq_u32_e64 s[0:1], s13, v12
	v_cndmask_b32_e64 v12, v15, v14, s[0:1]
	v_add_co_u32_e64 v14, s[0:1], 2, v8
	v_subb_co_u32_e32 v3, vcc, v13, v3, vcc
	v_addc_co_u32_e64 v15, s[0:1], 0, v9, s[0:1]
	v_cmp_le_u32_e32 vcc, s13, v3
	v_add_co_u32_e64 v16, s[0:1], 1, v8
	v_cndmask_b32_e64 v13, 0, -1, vcc
	v_cmp_le_u32_e32 vcc, s12, v2
	v_addc_co_u32_e64 v17, s[0:1], 0, v9, s[0:1]
	v_cndmask_b32_e64 v2, 0, -1, vcc
	v_cmp_eq_u32_e32 vcc, s13, v3
	v_cmp_ne_u32_e64 s[0:1], 0, v12
	v_cndmask_b32_e32 v2, v13, v2, vcc
	v_cndmask_b32_e64 v12, v17, v15, s[0:1]
	v_cmp_ne_u32_e32 vcc, 0, v2
	v_cndmask_b32_e64 v3, v16, v14, s[0:1]
	v_cndmask_b32_e32 v2, v9, v12, vcc
	v_cndmask_b32_e32 v3, v8, v3, vcc
	v_xor_b32_e32 v8, s6, v11
	v_xor_b32_e32 v9, v2, v8
	;; [unrolled: 1-line block ×3, first 2 shown]
	v_sub_co_u32_e32 v2, vcc, v2, v8
	v_subb_co_u32_e32 v3, vcc, v9, v8, vcc
.LBB28_7:
	s_andn2_saveexec_b64 s[0:1], s[2:3]
	s_cbranch_execz .LBB28_9
; %bb.8:
	v_cvt_f32_u32_e32 v2, s16
	s_sub_i32 s2, 0, s16
	v_rcp_iflag_f32_e32 v2, v2
	v_mul_f32_e32 v2, 0x4f7ffffe, v2
	v_cvt_u32_f32_e32 v2, v2
	v_mul_lo_u32 v3, s2, v2
	v_mul_hi_u32 v3, v2, v3
	v_add_u32_e32 v2, v2, v3
	v_mul_hi_u32 v2, v6, v2
	v_mul_lo_u32 v3, v2, s16
	v_add_u32_e32 v8, 1, v2
	v_sub_u32_e32 v3, v6, v3
	v_subrev_u32_e32 v9, s16, v3
	v_cmp_le_u32_e32 vcc, s16, v3
	v_cndmask_b32_e32 v3, v3, v9, vcc
	v_cndmask_b32_e32 v2, v2, v8, vcc
	v_add_u32_e32 v8, 1, v2
	v_cmp_le_u32_e32 vcc, s16, v3
	v_cndmask_b32_e32 v2, v2, v8, vcc
	v_mov_b32_e32 v3, 0
.LBB28_9:
	s_or_b64 exec, exec, s[0:1]
	v_mul_lo_u32 v11, s17, v2
	v_mul_lo_u32 v12, s16, v3
	v_mad_u64_u32 v[8:9], s[0:1], s16, v2, 0
	v_add3_u32 v9, v9, v12, v11
	v_sub_co_u32_e32 v12, vcc, v6, v8
	v_subb_co_u32_e32 v13, vcc, v7, v9, vcc
	v_or_b32_e32 v7, s15, v13
	v_mov_b32_e32 v6, 0
	v_cmp_ne_u64_e32 vcc, 0, v[6:7]
                                        ; implicit-def: $vgpr6_vgpr7
	s_and_saveexec_b64 s[0:1], vcc
	s_xor_b64 s[2:3], exec, s[0:1]
	s_cbranch_execz .LBB28_11
; %bb.10:
	s_ashr_i32 s6, s15, 31
	s_add_u32 s0, s14, s6
	s_mov_b32 s7, s6
	s_addc_u32 s1, s15, s6
	s_xor_b64 s[12:13], s[0:1], s[6:7]
	v_cvt_f32_u32_e32 v6, s12
	v_cvt_f32_u32_e32 v7, s13
	s_sub_u32 s7, 0, s12
	s_subb_u32 s16, 0, s13
	v_ashrrev_i32_e32 v11, 31, v13
	v_madmk_f32 v6, v7, 0x4f800000, v6
	v_rcp_f32_e32 v6, v6
	v_mul_f32_e32 v6, 0x5f7ffffc, v6
	v_mul_f32_e32 v7, 0x2f800000, v6
	v_trunc_f32_e32 v7, v7
	v_madmk_f32 v6, v7, 0xcf800000, v6
	v_cvt_u32_f32_e32 v7, v7
	v_cvt_u32_f32_e32 v6, v6
	v_readfirstlane_b32 s17, v7
	v_readfirstlane_b32 s0, v6
	s_mul_i32 s1, s7, s17
	s_mul_hi_u32 s19, s7, s0
	s_mul_i32 s18, s16, s0
	s_add_i32 s1, s19, s1
	s_add_i32 s1, s1, s18
	s_mul_i32 s24, s7, s0
	s_mul_i32 s19, s0, s1
	s_mul_hi_u32 s25, s0, s24
	s_mul_hi_u32 s18, s0, s1
	s_add_u32 s19, s25, s19
	s_addc_u32 s18, 0, s18
	s_mul_hi_u32 s26, s17, s24
	s_mul_i32 s24, s17, s24
	s_add_u32 s19, s19, s24
	s_mul_hi_u32 s25, s17, s1
	s_addc_u32 s18, s18, s26
	s_addc_u32 s19, s25, 0
	s_mul_i32 s1, s17, s1
	s_add_u32 s1, s18, s1
	s_addc_u32 s18, 0, s19
	s_add_u32 s19, s0, s1
	s_cselect_b64 s[0:1], -1, 0
	s_cmp_lg_u64 s[0:1], 0
	s_addc_u32 s17, s17, s18
	s_mul_i32 s0, s7, s17
	s_mul_hi_u32 s1, s7, s19
	s_add_i32 s0, s1, s0
	s_mul_i32 s16, s16, s19
	s_add_i32 s0, s0, s16
	s_mul_i32 s7, s7, s19
	s_mul_hi_u32 s16, s17, s7
	s_mul_i32 s18, s17, s7
	s_mul_i32 s25, s19, s0
	s_mul_hi_u32 s7, s19, s7
	s_mul_hi_u32 s24, s19, s0
	s_add_u32 s7, s7, s25
	s_addc_u32 s24, 0, s24
	s_add_u32 s7, s7, s18
	s_mul_hi_u32 s1, s17, s0
	s_addc_u32 s7, s24, s16
	s_addc_u32 s1, s1, 0
	s_mul_i32 s0, s17, s0
	s_add_u32 s0, s7, s0
	s_addc_u32 s7, 0, s1
	s_add_u32 s16, s19, s0
	s_cselect_b64 s[0:1], -1, 0
	s_cmp_lg_u64 s[0:1], 0
	v_add_co_u32_e32 v6, vcc, v12, v11
	s_addc_u32 s7, s17, s7
	v_xor_b32_e32 v14, v6, v11
	v_mad_u64_u32 v[6:7], s[0:1], v14, s7, 0
	v_mul_hi_u32 v9, v14, s16
	v_addc_co_u32_e32 v8, vcc, v13, v11, vcc
	v_xor_b32_e32 v15, v8, v11
	v_add_co_u32_e32 v16, vcc, v9, v6
	v_addc_co_u32_e32 v17, vcc, 0, v7, vcc
	v_mad_u64_u32 v[6:7], s[0:1], v15, s16, 0
	v_mad_u64_u32 v[8:9], s[0:1], v15, s7, 0
	v_add_co_u32_e32 v6, vcc, v16, v6
	v_addc_co_u32_e32 v6, vcc, v17, v7, vcc
	v_addc_co_u32_e32 v7, vcc, 0, v9, vcc
	v_add_co_u32_e32 v8, vcc, v6, v8
	v_addc_co_u32_e32 v9, vcc, 0, v7, vcc
	v_mul_lo_u32 v16, s13, v8
	v_mul_lo_u32 v17, s12, v9
	v_mad_u64_u32 v[6:7], s[0:1], s12, v8, 0
	v_add3_u32 v7, v7, v17, v16
	v_sub_u32_e32 v16, v15, v7
	v_mov_b32_e32 v17, s13
	v_sub_co_u32_e32 v6, vcc, v14, v6
	v_subb_co_u32_e64 v14, s[0:1], v16, v17, vcc
	v_subrev_co_u32_e64 v16, s[0:1], s12, v6
	v_subbrev_co_u32_e64 v14, s[0:1], 0, v14, s[0:1]
	v_cmp_le_u32_e64 s[0:1], s13, v14
	v_cndmask_b32_e64 v17, 0, -1, s[0:1]
	v_cmp_le_u32_e64 s[0:1], s12, v16
	v_cndmask_b32_e64 v16, 0, -1, s[0:1]
	v_cmp_eq_u32_e64 s[0:1], s13, v14
	v_cndmask_b32_e64 v14, v17, v16, s[0:1]
	v_add_co_u32_e64 v16, s[0:1], 2, v8
	v_subb_co_u32_e32 v7, vcc, v15, v7, vcc
	v_addc_co_u32_e64 v17, s[0:1], 0, v9, s[0:1]
	v_cmp_le_u32_e32 vcc, s13, v7
	v_add_co_u32_e64 v18, s[0:1], 1, v8
	v_cndmask_b32_e64 v15, 0, -1, vcc
	v_cmp_le_u32_e32 vcc, s12, v6
	v_addc_co_u32_e64 v19, s[0:1], 0, v9, s[0:1]
	v_cndmask_b32_e64 v6, 0, -1, vcc
	v_cmp_eq_u32_e32 vcc, s13, v7
	v_cmp_ne_u32_e64 s[0:1], 0, v14
	v_cndmask_b32_e32 v6, v15, v6, vcc
	v_cndmask_b32_e64 v14, v19, v17, s[0:1]
	v_cmp_ne_u32_e32 vcc, 0, v6
	v_cndmask_b32_e64 v7, v18, v16, s[0:1]
	v_cndmask_b32_e32 v6, v9, v14, vcc
	v_cndmask_b32_e32 v7, v8, v7, vcc
	v_xor_b32_e32 v8, s6, v11
	v_xor_b32_e32 v9, v6, v8
	;; [unrolled: 1-line block ×3, first 2 shown]
	v_sub_co_u32_e32 v6, vcc, v6, v8
	v_subb_co_u32_e32 v7, vcc, v9, v8, vcc
.LBB28_11:
	s_andn2_saveexec_b64 s[0:1], s[2:3]
	s_cbranch_execz .LBB28_13
; %bb.12:
	v_cvt_f32_u32_e32 v6, s14
	s_sub_i32 s2, 0, s14
	v_rcp_iflag_f32_e32 v6, v6
	v_mul_f32_e32 v6, 0x4f7ffffe, v6
	v_cvt_u32_f32_e32 v6, v6
	v_mul_lo_u32 v7, s2, v6
	v_mul_hi_u32 v7, v6, v7
	v_add_u32_e32 v6, v6, v7
	v_mul_hi_u32 v6, v12, v6
	v_mul_lo_u32 v7, v6, s14
	v_add_u32_e32 v8, 1, v6
	v_sub_u32_e32 v7, v12, v7
	v_subrev_u32_e32 v9, s14, v7
	v_cmp_le_u32_e32 vcc, s14, v7
	v_cndmask_b32_e32 v7, v7, v9, vcc
	v_cndmask_b32_e32 v6, v6, v8, vcc
	v_add_u32_e32 v8, 1, v6
	v_cmp_le_u32_e32 vcc, s14, v7
	v_cndmask_b32_e32 v6, v6, v8, vcc
	v_mov_b32_e32 v7, 0
.LBB28_13:
	s_or_b64 exec, exec, s[0:1]
	s_load_dwordx16 s[36:51], s[4:5], 0x40
	v_mov_b32_e32 v8, 0
	s_waitcnt lgkmcnt(0)
	s_mul_i32 s0, s42, s41
	s_mul_hi_u32 s1, s42, s40
	s_mul_i32 s2, s43, s40
	s_mul_i32 s16, s42, s40
	s_add_i32 s17, s1, s0
	s_mul_i32 s0, s16, s45
	s_add_i32 s17, s17, s2
	s_mul_hi_u32 s1, s16, s44
	s_add_i32 s0, s1, s0
	s_mul_i32 s1, s17, s44
	s_add_i32 s18, s0, s1
	v_or_b32_e32 v9, s18, v5
	v_cmp_ne_u64_e32 vcc, 0, v[8:9]
	s_mul_i32 s19, s16, s44
                                        ; implicit-def: $vgpr8_vgpr9
	s_and_saveexec_b64 s[0:1], vcc
	s_xor_b64 s[2:3], exec, s[0:1]
	s_cbranch_execz .LBB28_15
; %bb.14:
	s_ashr_i32 s6, s18, 31
	s_add_u32 s0, s19, s6
	s_mov_b32 s7, s6
	s_addc_u32 s1, s18, s6
	s_xor_b64 s[12:13], s[0:1], s[6:7]
	v_cvt_f32_u32_e32 v8, s12
	v_cvt_f32_u32_e32 v9, s13
	s_sub_u32 s7, 0, s12
	s_subb_u32 s24, 0, s13
	v_madmk_f32 v8, v9, 0x4f800000, v8
	v_rcp_f32_e32 v8, v8
	v_mul_f32_e32 v8, 0x5f7ffffc, v8
	v_mul_f32_e32 v9, 0x2f800000, v8
	v_trunc_f32_e32 v9, v9
	v_madmk_f32 v8, v9, 0xcf800000, v8
	v_cvt_u32_f32_e32 v9, v9
	v_cvt_u32_f32_e32 v8, v8
	v_readfirstlane_b32 s25, v9
	v_readfirstlane_b32 s0, v8
	s_mul_i32 s1, s7, s25
	s_mul_hi_u32 s27, s7, s0
	s_mul_i32 s26, s24, s0
	s_add_i32 s1, s27, s1
	s_add_i32 s1, s1, s26
	s_mul_i32 s28, s7, s0
	s_mul_i32 s27, s0, s1
	s_mul_hi_u32 s29, s0, s28
	s_mul_hi_u32 s26, s0, s1
	s_add_u32 s27, s29, s27
	s_addc_u32 s26, 0, s26
	s_mul_hi_u32 s30, s25, s28
	s_mul_i32 s28, s25, s28
	s_add_u32 s27, s27, s28
	s_mul_hi_u32 s29, s25, s1
	s_addc_u32 s26, s26, s30
	s_addc_u32 s27, s29, 0
	s_mul_i32 s1, s25, s1
	s_add_u32 s1, s26, s1
	s_addc_u32 s26, 0, s27
	s_add_u32 s27, s0, s1
	s_cselect_b64 s[0:1], -1, 0
	s_cmp_lg_u64 s[0:1], 0
	s_addc_u32 s25, s25, s26
	s_mul_i32 s0, s7, s25
	s_mul_hi_u32 s1, s7, s27
	s_add_i32 s0, s1, s0
	s_mul_i32 s24, s24, s27
	s_add_i32 s0, s0, s24
	s_mul_i32 s7, s7, s27
	s_mul_hi_u32 s24, s25, s7
	s_mul_i32 s26, s25, s7
	s_mul_i32 s29, s27, s0
	s_mul_hi_u32 s7, s27, s7
	s_mul_hi_u32 s28, s27, s0
	s_add_u32 s7, s7, s29
	s_addc_u32 s28, 0, s28
	s_add_u32 s7, s7, s26
	s_mul_hi_u32 s1, s25, s0
	s_addc_u32 s7, s28, s24
	s_addc_u32 s1, s1, 0
	s_mul_i32 s0, s25, s0
	s_add_u32 s0, s7, s0
	s_addc_u32 s7, 0, s1
	s_add_u32 s24, s27, s0
	s_cselect_b64 s[0:1], -1, 0
	s_cmp_lg_u64 s[0:1], 0
	v_add_co_u32_e32 v8, vcc, v4, v10
	s_addc_u32 s7, s25, s7
	v_xor_b32_e32 v16, v8, v10
	v_mad_u64_u32 v[8:9], s[0:1], v16, s7, 0
	v_mul_hi_u32 v14, v16, s24
	v_addc_co_u32_e32 v11, vcc, v5, v10, vcc
	v_xor_b32_e32 v11, v11, v10
	v_add_co_u32_e32 v17, vcc, v14, v8
	v_addc_co_u32_e32 v18, vcc, 0, v9, vcc
	v_mad_u64_u32 v[8:9], s[0:1], v11, s24, 0
	v_mad_u64_u32 v[14:15], s[0:1], v11, s7, 0
	v_add_co_u32_e32 v8, vcc, v17, v8
	v_addc_co_u32_e32 v8, vcc, v18, v9, vcc
	v_addc_co_u32_e32 v9, vcc, 0, v15, vcc
	v_add_co_u32_e32 v14, vcc, v8, v14
	v_addc_co_u32_e32 v15, vcc, 0, v9, vcc
	v_mul_lo_u32 v17, s13, v14
	v_mul_lo_u32 v18, s12, v15
	v_mad_u64_u32 v[8:9], s[0:1], s12, v14, 0
	v_xor_b32_e32 v10, s6, v10
	v_add3_u32 v9, v9, v18, v17
	v_sub_u32_e32 v17, v11, v9
	v_mov_b32_e32 v18, s13
	v_sub_co_u32_e32 v8, vcc, v16, v8
	v_subb_co_u32_e64 v16, s[0:1], v17, v18, vcc
	v_subrev_co_u32_e64 v17, s[0:1], s12, v8
	v_subbrev_co_u32_e64 v16, s[0:1], 0, v16, s[0:1]
	v_cmp_le_u32_e64 s[0:1], s13, v16
	v_cndmask_b32_e64 v18, 0, -1, s[0:1]
	v_cmp_le_u32_e64 s[0:1], s12, v17
	v_cndmask_b32_e64 v17, 0, -1, s[0:1]
	v_cmp_eq_u32_e64 s[0:1], s13, v16
	v_cndmask_b32_e64 v16, v18, v17, s[0:1]
	v_add_co_u32_e64 v17, s[0:1], 2, v14
	v_subb_co_u32_e32 v9, vcc, v11, v9, vcc
	v_addc_co_u32_e64 v18, s[0:1], 0, v15, s[0:1]
	v_cmp_le_u32_e32 vcc, s13, v9
	v_add_co_u32_e64 v19, s[0:1], 1, v14
	v_cndmask_b32_e64 v11, 0, -1, vcc
	v_cmp_le_u32_e32 vcc, s12, v8
	v_addc_co_u32_e64 v20, s[0:1], 0, v15, s[0:1]
	v_cndmask_b32_e64 v8, 0, -1, vcc
	v_cmp_eq_u32_e32 vcc, s13, v9
	v_cmp_ne_u32_e64 s[0:1], 0, v16
	v_cndmask_b32_e32 v8, v11, v8, vcc
	v_cndmask_b32_e64 v16, v20, v18, s[0:1]
	v_cmp_ne_u32_e32 vcc, 0, v8
	v_cndmask_b32_e64 v9, v19, v17, s[0:1]
	v_cndmask_b32_e32 v8, v15, v16, vcc
	v_cndmask_b32_e32 v9, v14, v9, vcc
	v_xor_b32_e32 v11, v8, v10
	v_xor_b32_e32 v8, v9, v10
	v_sub_co_u32_e32 v8, vcc, v8, v10
	v_subb_co_u32_e32 v9, vcc, v11, v10, vcc
.LBB28_15:
	s_andn2_saveexec_b64 s[0:1], s[2:3]
	s_cbranch_execz .LBB28_17
; %bb.16:
	v_cvt_f32_u32_e32 v8, s19
	s_sub_i32 s2, 0, s19
	v_rcp_iflag_f32_e32 v8, v8
	v_mul_f32_e32 v8, 0x4f7ffffe, v8
	v_cvt_u32_f32_e32 v8, v8
	v_mul_lo_u32 v9, s2, v8
	v_mul_hi_u32 v9, v8, v9
	v_add_u32_e32 v8, v8, v9
	v_mul_hi_u32 v8, v4, v8
	v_mul_lo_u32 v9, v8, s19
	v_add_u32_e32 v10, 1, v8
	v_sub_u32_e32 v9, v4, v9
	v_subrev_u32_e32 v11, s19, v9
	v_cmp_le_u32_e32 vcc, s19, v9
	v_cndmask_b32_e32 v9, v9, v11, vcc
	v_cndmask_b32_e32 v8, v8, v10, vcc
	v_add_u32_e32 v10, 1, v8
	v_cmp_le_u32_e32 vcc, s19, v9
	v_cndmask_b32_e32 v8, v8, v10, vcc
	v_mov_b32_e32 v9, 0
.LBB28_17:
	s_or_b64 exec, exec, s[0:1]
	v_mul_lo_u32 v14, s18, v8
	v_mul_lo_u32 v15, s19, v9
	v_mad_u64_u32 v[10:11], s[0:1], s19, v8, 0
	v_add3_u32 v11, v11, v15, v14
	v_sub_co_u32_e32 v10, vcc, v4, v10
	v_subb_co_u32_e32 v11, vcc, v5, v11, vcc
	v_or_b32_e32 v5, s17, v11
	v_mov_b32_e32 v4, 0
	v_cmp_ne_u64_e32 vcc, 0, v[4:5]
                                        ; implicit-def: $vgpr4_vgpr5
	s_and_saveexec_b64 s[0:1], vcc
	s_xor_b64 s[2:3], exec, s[0:1]
	s_cbranch_execz .LBB28_19
; %bb.18:
	s_ashr_i32 s6, s17, 31
	s_add_u32 s0, s16, s6
	s_mov_b32 s7, s6
	s_addc_u32 s1, s17, s6
	s_xor_b64 s[12:13], s[0:1], s[6:7]
	v_cvt_f32_u32_e32 v4, s12
	v_cvt_f32_u32_e32 v5, s13
	s_sub_u32 s7, 0, s12
	s_subb_u32 s18, 0, s13
	v_ashrrev_i32_e32 v16, 31, v11
	v_madmk_f32 v4, v5, 0x4f800000, v4
	v_rcp_f32_e32 v4, v4
	v_mul_f32_e32 v4, 0x5f7ffffc, v4
	v_mul_f32_e32 v5, 0x2f800000, v4
	v_trunc_f32_e32 v5, v5
	v_madmk_f32 v4, v5, 0xcf800000, v4
	v_cvt_u32_f32_e32 v5, v5
	v_cvt_u32_f32_e32 v4, v4
	v_readfirstlane_b32 s19, v5
	v_readfirstlane_b32 s0, v4
	s_mul_i32 s1, s7, s19
	s_mul_hi_u32 s25, s7, s0
	s_mul_i32 s24, s18, s0
	s_add_i32 s1, s25, s1
	s_add_i32 s1, s1, s24
	s_mul_i32 s26, s7, s0
	s_mul_i32 s25, s0, s1
	s_mul_hi_u32 s27, s0, s26
	s_mul_hi_u32 s24, s0, s1
	s_add_u32 s25, s27, s25
	s_addc_u32 s24, 0, s24
	s_mul_hi_u32 s28, s19, s26
	s_mul_i32 s26, s19, s26
	s_add_u32 s25, s25, s26
	s_mul_hi_u32 s27, s19, s1
	s_addc_u32 s24, s24, s28
	s_addc_u32 s25, s27, 0
	s_mul_i32 s1, s19, s1
	s_add_u32 s1, s24, s1
	s_addc_u32 s24, 0, s25
	s_add_u32 s25, s0, s1
	s_cselect_b64 s[0:1], -1, 0
	s_cmp_lg_u64 s[0:1], 0
	s_addc_u32 s19, s19, s24
	s_mul_i32 s0, s7, s19
	s_mul_hi_u32 s1, s7, s25
	s_add_i32 s0, s1, s0
	s_mul_i32 s18, s18, s25
	s_add_i32 s0, s0, s18
	s_mul_i32 s7, s7, s25
	s_mul_hi_u32 s18, s19, s7
	s_mul_i32 s24, s19, s7
	s_mul_i32 s27, s25, s0
	s_mul_hi_u32 s7, s25, s7
	s_mul_hi_u32 s26, s25, s0
	s_add_u32 s7, s7, s27
	s_addc_u32 s26, 0, s26
	s_add_u32 s7, s7, s24
	s_mul_hi_u32 s1, s19, s0
	s_addc_u32 s7, s26, s18
	s_addc_u32 s1, s1, 0
	s_mul_i32 s0, s19, s0
	s_add_u32 s0, s7, s0
	s_addc_u32 s7, 0, s1
	s_add_u32 s18, s25, s0
	s_cselect_b64 s[0:1], -1, 0
	s_cmp_lg_u64 s[0:1], 0
	v_add_co_u32_e32 v4, vcc, v10, v16
	s_addc_u32 s7, s19, s7
	v_xor_b32_e32 v17, v4, v16
	v_mad_u64_u32 v[4:5], s[0:1], v17, s7, 0
	v_mul_hi_u32 v15, v17, s18
	v_addc_co_u32_e32 v14, vcc, v11, v16, vcc
	v_xor_b32_e32 v18, v14, v16
	v_add_co_u32_e32 v19, vcc, v15, v4
	v_addc_co_u32_e32 v20, vcc, 0, v5, vcc
	v_mad_u64_u32 v[4:5], s[0:1], v18, s18, 0
	v_mad_u64_u32 v[14:15], s[0:1], v18, s7, 0
	v_add_co_u32_e32 v4, vcc, v19, v4
	v_addc_co_u32_e32 v4, vcc, v20, v5, vcc
	v_addc_co_u32_e32 v5, vcc, 0, v15, vcc
	v_add_co_u32_e32 v14, vcc, v4, v14
	v_addc_co_u32_e32 v15, vcc, 0, v5, vcc
	v_mul_lo_u32 v19, s13, v14
	v_mul_lo_u32 v20, s12, v15
	v_mad_u64_u32 v[4:5], s[0:1], s12, v14, 0
	v_add3_u32 v5, v5, v20, v19
	v_sub_u32_e32 v19, v18, v5
	v_mov_b32_e32 v20, s13
	v_sub_co_u32_e32 v4, vcc, v17, v4
	v_subb_co_u32_e64 v17, s[0:1], v19, v20, vcc
	v_subrev_co_u32_e64 v19, s[0:1], s12, v4
	v_subbrev_co_u32_e64 v17, s[0:1], 0, v17, s[0:1]
	v_cmp_le_u32_e64 s[0:1], s13, v17
	v_cndmask_b32_e64 v20, 0, -1, s[0:1]
	v_cmp_le_u32_e64 s[0:1], s12, v19
	v_cndmask_b32_e64 v19, 0, -1, s[0:1]
	v_cmp_eq_u32_e64 s[0:1], s13, v17
	v_cndmask_b32_e64 v17, v20, v19, s[0:1]
	v_add_co_u32_e64 v19, s[0:1], 2, v14
	v_subb_co_u32_e32 v5, vcc, v18, v5, vcc
	v_addc_co_u32_e64 v20, s[0:1], 0, v15, s[0:1]
	v_cmp_le_u32_e32 vcc, s13, v5
	v_add_co_u32_e64 v21, s[0:1], 1, v14
	v_cndmask_b32_e64 v18, 0, -1, vcc
	v_cmp_le_u32_e32 vcc, s12, v4
	v_addc_co_u32_e64 v22, s[0:1], 0, v15, s[0:1]
	v_cndmask_b32_e64 v4, 0, -1, vcc
	v_cmp_eq_u32_e32 vcc, s13, v5
	v_cmp_ne_u32_e64 s[0:1], 0, v17
	v_cndmask_b32_e32 v4, v18, v4, vcc
	v_cndmask_b32_e64 v17, v22, v20, s[0:1]
	v_cmp_ne_u32_e32 vcc, 0, v4
	v_cndmask_b32_e64 v5, v21, v19, s[0:1]
	v_cndmask_b32_e32 v4, v15, v17, vcc
	v_cndmask_b32_e32 v5, v14, v5, vcc
	v_xor_b32_e32 v14, s6, v16
	v_xor_b32_e32 v15, v4, v14
	;; [unrolled: 1-line block ×3, first 2 shown]
	v_sub_co_u32_e32 v4, vcc, v4, v14
	v_subb_co_u32_e32 v5, vcc, v15, v14, vcc
.LBB28_19:
	s_andn2_saveexec_b64 s[0:1], s[2:3]
	s_cbranch_execz .LBB28_21
; %bb.20:
	v_cvt_f32_u32_e32 v4, s16
	s_sub_i32 s2, 0, s16
	v_rcp_iflag_f32_e32 v4, v4
	v_mul_f32_e32 v4, 0x4f7ffffe, v4
	v_cvt_u32_f32_e32 v4, v4
	v_mul_lo_u32 v5, s2, v4
	v_mul_hi_u32 v5, v4, v5
	v_add_u32_e32 v4, v4, v5
	v_mul_hi_u32 v4, v10, v4
	v_mul_lo_u32 v5, v4, s16
	v_add_u32_e32 v14, 1, v4
	v_sub_u32_e32 v5, v10, v5
	v_subrev_u32_e32 v15, s16, v5
	v_cmp_le_u32_e32 vcc, s16, v5
	v_cndmask_b32_e32 v5, v5, v15, vcc
	v_cndmask_b32_e32 v4, v4, v14, vcc
	v_add_u32_e32 v14, 1, v4
	v_cmp_le_u32_e32 vcc, s16, v5
	v_cndmask_b32_e32 v4, v4, v14, vcc
	v_mov_b32_e32 v5, 0
.LBB28_21:
	s_or_b64 exec, exec, s[0:1]
	v_mul_lo_u32 v16, s17, v4
	v_mul_lo_u32 v17, s16, v5
	v_mad_u64_u32 v[14:15], s[0:1], s16, v4, 0
	v_add3_u32 v15, v15, v17, v16
	v_sub_co_u32_e32 v14, vcc, v10, v14
	v_subb_co_u32_e32 v15, vcc, v11, v15, vcc
	v_or_b32_e32 v11, s41, v15
	v_mov_b32_e32 v10, 0
	v_cmp_ne_u64_e32 vcc, 0, v[10:11]
                                        ; implicit-def: $vgpr10_vgpr11
	s_and_saveexec_b64 s[0:1], vcc
	s_xor_b64 s[2:3], exec, s[0:1]
	s_cbranch_execz .LBB28_23
; %bb.22:
	s_ashr_i32 s6, s41, 31
	s_add_u32 s0, s40, s6
	s_mov_b32 s7, s6
	s_addc_u32 s1, s41, s6
	s_xor_b64 s[12:13], s[0:1], s[6:7]
	v_cvt_f32_u32_e32 v10, s12
	v_cvt_f32_u32_e32 v11, s13
	s_sub_u32 s7, 0, s12
	s_subb_u32 s16, 0, s13
	v_ashrrev_i32_e32 v18, 31, v15
	v_madmk_f32 v10, v11, 0x4f800000, v10
	v_rcp_f32_e32 v10, v10
	v_mul_f32_e32 v10, 0x5f7ffffc, v10
	v_mul_f32_e32 v11, 0x2f800000, v10
	v_trunc_f32_e32 v11, v11
	v_madmk_f32 v10, v11, 0xcf800000, v10
	v_cvt_u32_f32_e32 v11, v11
	v_cvt_u32_f32_e32 v10, v10
	v_readfirstlane_b32 s17, v11
	v_readfirstlane_b32 s0, v10
	s_mul_i32 s1, s7, s17
	s_mul_hi_u32 s19, s7, s0
	s_mul_i32 s18, s16, s0
	s_add_i32 s1, s19, s1
	s_add_i32 s1, s1, s18
	s_mul_i32 s24, s7, s0
	s_mul_i32 s19, s0, s1
	s_mul_hi_u32 s25, s0, s24
	s_mul_hi_u32 s18, s0, s1
	s_add_u32 s19, s25, s19
	s_addc_u32 s18, 0, s18
	s_mul_hi_u32 s26, s17, s24
	s_mul_i32 s24, s17, s24
	s_add_u32 s19, s19, s24
	s_mul_hi_u32 s25, s17, s1
	s_addc_u32 s18, s18, s26
	s_addc_u32 s19, s25, 0
	s_mul_i32 s1, s17, s1
	s_add_u32 s1, s18, s1
	s_addc_u32 s18, 0, s19
	s_add_u32 s19, s0, s1
	s_cselect_b64 s[0:1], -1, 0
	s_cmp_lg_u64 s[0:1], 0
	s_addc_u32 s17, s17, s18
	s_mul_i32 s0, s7, s17
	s_mul_hi_u32 s1, s7, s19
	s_add_i32 s0, s1, s0
	s_mul_i32 s16, s16, s19
	s_add_i32 s0, s0, s16
	s_mul_i32 s7, s7, s19
	s_mul_hi_u32 s16, s17, s7
	s_mul_i32 s18, s17, s7
	s_mul_i32 s25, s19, s0
	s_mul_hi_u32 s7, s19, s7
	s_mul_hi_u32 s24, s19, s0
	s_add_u32 s7, s7, s25
	s_addc_u32 s24, 0, s24
	s_add_u32 s7, s7, s18
	s_mul_hi_u32 s1, s17, s0
	s_addc_u32 s7, s24, s16
	s_addc_u32 s1, s1, 0
	s_mul_i32 s0, s17, s0
	s_add_u32 s0, s7, s0
	s_addc_u32 s7, 0, s1
	s_add_u32 s16, s19, s0
	s_cselect_b64 s[0:1], -1, 0
	s_cmp_lg_u64 s[0:1], 0
	v_add_co_u32_e32 v10, vcc, v14, v18
	s_addc_u32 s7, s17, s7
	v_xor_b32_e32 v19, v10, v18
	v_mad_u64_u32 v[10:11], s[0:1], v19, s7, 0
	v_mul_hi_u32 v17, v19, s16
	v_addc_co_u32_e32 v16, vcc, v15, v18, vcc
	v_xor_b32_e32 v20, v16, v18
	v_add_co_u32_e32 v21, vcc, v17, v10
	v_addc_co_u32_e32 v22, vcc, 0, v11, vcc
	v_mad_u64_u32 v[10:11], s[0:1], v20, s16, 0
	v_mad_u64_u32 v[16:17], s[0:1], v20, s7, 0
	v_add_co_u32_e32 v10, vcc, v21, v10
	v_addc_co_u32_e32 v10, vcc, v22, v11, vcc
	v_addc_co_u32_e32 v11, vcc, 0, v17, vcc
	v_add_co_u32_e32 v16, vcc, v10, v16
	v_addc_co_u32_e32 v17, vcc, 0, v11, vcc
	v_mul_lo_u32 v21, s13, v16
	v_mul_lo_u32 v22, s12, v17
	v_mad_u64_u32 v[10:11], s[0:1], s12, v16, 0
	v_add3_u32 v11, v11, v22, v21
	v_sub_u32_e32 v21, v20, v11
	v_mov_b32_e32 v22, s13
	v_sub_co_u32_e32 v10, vcc, v19, v10
	v_subb_co_u32_e64 v19, s[0:1], v21, v22, vcc
	v_subrev_co_u32_e64 v21, s[0:1], s12, v10
	v_subbrev_co_u32_e64 v19, s[0:1], 0, v19, s[0:1]
	v_cmp_le_u32_e64 s[0:1], s13, v19
	v_cndmask_b32_e64 v22, 0, -1, s[0:1]
	v_cmp_le_u32_e64 s[0:1], s12, v21
	v_cndmask_b32_e64 v21, 0, -1, s[0:1]
	v_cmp_eq_u32_e64 s[0:1], s13, v19
	v_cndmask_b32_e64 v19, v22, v21, s[0:1]
	v_add_co_u32_e64 v21, s[0:1], 2, v16
	v_subb_co_u32_e32 v11, vcc, v20, v11, vcc
	v_addc_co_u32_e64 v22, s[0:1], 0, v17, s[0:1]
	v_cmp_le_u32_e32 vcc, s13, v11
	v_add_co_u32_e64 v23, s[0:1], 1, v16
	v_cndmask_b32_e64 v20, 0, -1, vcc
	v_cmp_le_u32_e32 vcc, s12, v10
	v_addc_co_u32_e64 v24, s[0:1], 0, v17, s[0:1]
	v_cndmask_b32_e64 v10, 0, -1, vcc
	v_cmp_eq_u32_e32 vcc, s13, v11
	v_cmp_ne_u32_e64 s[0:1], 0, v19
	v_cndmask_b32_e32 v10, v20, v10, vcc
	v_cndmask_b32_e64 v19, v24, v22, s[0:1]
	v_cmp_ne_u32_e32 vcc, 0, v10
	v_cndmask_b32_e64 v11, v23, v21, s[0:1]
	v_cndmask_b32_e32 v10, v17, v19, vcc
	v_cndmask_b32_e32 v11, v16, v11, vcc
	v_xor_b32_e32 v16, s6, v18
	v_xor_b32_e32 v17, v10, v16
	;; [unrolled: 1-line block ×3, first 2 shown]
	v_sub_co_u32_e32 v10, vcc, v10, v16
	v_subb_co_u32_e32 v11, vcc, v17, v16, vcc
.LBB28_23:
	s_andn2_saveexec_b64 s[0:1], s[2:3]
	s_cbranch_execz .LBB28_25
; %bb.24:
	v_cvt_f32_u32_e32 v10, s40
	s_sub_i32 s2, 0, s40
	v_rcp_iflag_f32_e32 v10, v10
	v_mul_f32_e32 v10, 0x4f7ffffe, v10
	v_cvt_u32_f32_e32 v10, v10
	v_mul_lo_u32 v11, s2, v10
	v_mul_hi_u32 v11, v10, v11
	v_add_u32_e32 v10, v10, v11
	v_mul_hi_u32 v10, v14, v10
	v_mul_lo_u32 v11, v10, s40
	v_add_u32_e32 v16, 1, v10
	v_sub_u32_e32 v11, v14, v11
	v_subrev_u32_e32 v17, s40, v11
	v_cmp_le_u32_e32 vcc, s40, v11
	v_cndmask_b32_e32 v11, v11, v17, vcc
	v_cndmask_b32_e32 v10, v10, v16, vcc
	v_add_u32_e32 v16, 1, v10
	v_cmp_le_u32_e32 vcc, s40, v11
	v_cndmask_b32_e32 v10, v10, v16, vcc
	v_mov_b32_e32 v11, 0
.LBB28_25:
	s_or_b64 exec, exec, s[0:1]
	v_mul_lo_u32 v18, v7, s14
	v_mul_lo_u32 v19, v6, s15
	v_mad_u64_u32 v[16:17], s[0:1], v6, s14, 0
	v_mul_lo_u32 v7, v7, s22
	v_mul_lo_u32 v3, v3, s36
	v_add3_u32 v17, v17, v19, v18
	v_sub_co_u32_e32 v16, vcc, v12, v16
	v_subb_co_u32_e32 v17, vcc, v13, v17, vcc
	v_mov_b32_e32 v12, s8
	v_mov_b32_e32 v13, s9
	v_mul_lo_u32 v18, v16, s21
	v_mul_lo_u32 v17, v17, s20
	v_mad_u64_u32 v[12:13], s[0:1], v16, s20, v[12:13]
	v_mul_lo_u32 v1, v1, s38
	v_add3_u32 v13, v17, v13, v18
	v_mad_u64_u32 v[12:13], s[0:1], v6, s22, v[12:13]
	v_mul_lo_u32 v6, v6, s23
	v_add3_u32 v13, v7, v13, v6
	v_mad_u64_u32 v[6:7], s[0:1], v2, s36, v[12:13]
	v_mul_lo_u32 v2, v2, s37
	v_mul_lo_u32 v12, v10, s41
	v_add3_u32 v7, v3, v7, v2
	v_mad_u64_u32 v[2:3], s[0:1], v0, s38, v[6:7]
	v_mul_lo_u32 v0, v0, s39
	v_mul_lo_u32 v7, v11, s40
	v_add3_u32 v3, v1, v3, v0
	global_load_ushort v6, v[2:3], off
	v_mad_u64_u32 v[0:1], s[0:1], v10, s40, 0
	v_mov_b32_e32 v2, s10
	v_mov_b32_e32 v3, s11
	v_add3_u32 v1, v1, v12, v7
	v_sub_co_u32_e32 v0, vcc, v14, v0
	v_subb_co_u32_e32 v1, vcc, v15, v1, vcc
	v_mul_lo_u32 v7, v0, s47
	v_mul_lo_u32 v12, v1, s46
	v_mad_u64_u32 v[0:1], s[0:1], v0, s46, v[2:3]
	v_mul_lo_u32 v2, v10, s49
	v_mul_lo_u32 v3, v11, s48
	v_add3_u32 v1, v12, v1, v7
	v_mad_u64_u32 v[0:1], s[0:1], v10, s48, v[0:1]
	v_add3_u32 v1, v3, v1, v2
	v_mad_u64_u32 v[0:1], s[0:1], v4, s50, v[0:1]
	v_mul_lo_u32 v2, v4, s51
	v_mul_lo_u32 v3, v5, s50
	s_load_dwordx2 s[0:1], s[4:5], 0x80
	v_add3_u32 v1, v3, v1, v2
	s_waitcnt lgkmcnt(0)
	v_mad_u64_u32 v[0:1], s[2:3], v8, s0, v[0:1]
	v_mul_lo_u32 v2, v8, s1
	v_mul_lo_u32 v3, v9, s0
	v_add3_u32 v1, v3, v1, v2
	s_waitcnt vmcnt(0)
	v_lshlrev_b32_e32 v2, 16, v6
	global_store_dword v[0:1], v2, off
.LBB28_26:
	s_endpgm
	.section	.rodata,"a",@progbits
	.p2align	6, 0x0
	.amdhsa_kernel _ZL10cpy_scalarIXadL_ZL12cpy_1_scalarI14__hip_bfloat16fEvPKcPcEEEvS3_S4_lllllllllllllll
		.amdhsa_group_segment_fixed_size 0
		.amdhsa_private_segment_fixed_size 0
		.amdhsa_kernarg_size 392
		.amdhsa_user_sgpr_count 6
		.amdhsa_user_sgpr_private_segment_buffer 1
		.amdhsa_user_sgpr_dispatch_ptr 0
		.amdhsa_user_sgpr_queue_ptr 0
		.amdhsa_user_sgpr_kernarg_segment_ptr 1
		.amdhsa_user_sgpr_dispatch_id 0
		.amdhsa_user_sgpr_flat_scratch_init 0
		.amdhsa_user_sgpr_private_segment_size 0
		.amdhsa_uses_dynamic_stack 0
		.amdhsa_system_sgpr_private_segment_wavefront_offset 0
		.amdhsa_system_sgpr_workgroup_id_x 1
		.amdhsa_system_sgpr_workgroup_id_y 0
		.amdhsa_system_sgpr_workgroup_id_z 0
		.amdhsa_system_sgpr_workgroup_info 0
		.amdhsa_system_vgpr_workitem_id 0
		.amdhsa_next_free_vgpr 25
		.amdhsa_next_free_sgpr 52
		.amdhsa_reserve_vcc 1
		.amdhsa_reserve_flat_scratch 0
		.amdhsa_float_round_mode_32 0
		.amdhsa_float_round_mode_16_64 0
		.amdhsa_float_denorm_mode_32 3
		.amdhsa_float_denorm_mode_16_64 3
		.amdhsa_dx10_clamp 1
		.amdhsa_ieee_mode 1
		.amdhsa_fp16_overflow 0
		.amdhsa_exception_fp_ieee_invalid_op 0
		.amdhsa_exception_fp_denorm_src 0
		.amdhsa_exception_fp_ieee_div_zero 0
		.amdhsa_exception_fp_ieee_overflow 0
		.amdhsa_exception_fp_ieee_underflow 0
		.amdhsa_exception_fp_ieee_inexact 0
		.amdhsa_exception_int_div_zero 0
	.end_amdhsa_kernel
	.section	.text._ZL10cpy_scalarIXadL_ZL12cpy_1_scalarI14__hip_bfloat16fEvPKcPcEEEvS3_S4_lllllllllllllll,"axG",@progbits,_ZL10cpy_scalarIXadL_ZL12cpy_1_scalarI14__hip_bfloat16fEvPKcPcEEEvS3_S4_lllllllllllllll,comdat
.Lfunc_end28:
	.size	_ZL10cpy_scalarIXadL_ZL12cpy_1_scalarI14__hip_bfloat16fEvPKcPcEEEvS3_S4_lllllllllllllll, .Lfunc_end28-_ZL10cpy_scalarIXadL_ZL12cpy_1_scalarI14__hip_bfloat16fEvPKcPcEEEvS3_S4_lllllllllllllll
                                        ; -- End function
	.set _ZL10cpy_scalarIXadL_ZL12cpy_1_scalarI14__hip_bfloat16fEvPKcPcEEEvS3_S4_lllllllllllllll.num_vgpr, 25
	.set _ZL10cpy_scalarIXadL_ZL12cpy_1_scalarI14__hip_bfloat16fEvPKcPcEEEvS3_S4_lllllllllllllll.num_agpr, 0
	.set _ZL10cpy_scalarIXadL_ZL12cpy_1_scalarI14__hip_bfloat16fEvPKcPcEEEvS3_S4_lllllllllllllll.numbered_sgpr, 52
	.set _ZL10cpy_scalarIXadL_ZL12cpy_1_scalarI14__hip_bfloat16fEvPKcPcEEEvS3_S4_lllllllllllllll.num_named_barrier, 0
	.set _ZL10cpy_scalarIXadL_ZL12cpy_1_scalarI14__hip_bfloat16fEvPKcPcEEEvS3_S4_lllllllllllllll.private_seg_size, 0
	.set _ZL10cpy_scalarIXadL_ZL12cpy_1_scalarI14__hip_bfloat16fEvPKcPcEEEvS3_S4_lllllllllllllll.uses_vcc, 1
	.set _ZL10cpy_scalarIXadL_ZL12cpy_1_scalarI14__hip_bfloat16fEvPKcPcEEEvS3_S4_lllllllllllllll.uses_flat_scratch, 0
	.set _ZL10cpy_scalarIXadL_ZL12cpy_1_scalarI14__hip_bfloat16fEvPKcPcEEEvS3_S4_lllllllllllllll.has_dyn_sized_stack, 0
	.set _ZL10cpy_scalarIXadL_ZL12cpy_1_scalarI14__hip_bfloat16fEvPKcPcEEEvS3_S4_lllllllllllllll.has_recursion, 0
	.set _ZL10cpy_scalarIXadL_ZL12cpy_1_scalarI14__hip_bfloat16fEvPKcPcEEEvS3_S4_lllllllllllllll.has_indirect_call, 0
	.section	.AMDGPU.csdata,"",@progbits
; Kernel info:
; codeLenInByte = 5200
; TotalNumSgprs: 56
; NumVgprs: 25
; ScratchSize: 0
; MemoryBound: 0
; FloatMode: 240
; IeeeMode: 1
; LDSByteSize: 0 bytes/workgroup (compile time only)
; SGPRBlocks: 6
; VGPRBlocks: 6
; NumSGPRsForWavesPerEU: 56
; NumVGPRsForWavesPerEU: 25
; Occupancy: 9
; WaveLimiterHint : 0
; COMPUTE_PGM_RSRC2:SCRATCH_EN: 0
; COMPUTE_PGM_RSRC2:USER_SGPR: 6
; COMPUTE_PGM_RSRC2:TRAP_HANDLER: 0
; COMPUTE_PGM_RSRC2:TGID_X_EN: 1
; COMPUTE_PGM_RSRC2:TGID_Y_EN: 0
; COMPUTE_PGM_RSRC2:TGID_Z_EN: 0
; COMPUTE_PGM_RSRC2:TIDIG_COMP_CNT: 0
	.section	.text._ZL20cpy_scalar_transposeIiEvPKcPclllllllllllllll,"axG",@progbits,_ZL20cpy_scalar_transposeIiEvPKcPclllllllllllllll,comdat
	.globl	_ZL20cpy_scalar_transposeIiEvPKcPclllllllllllllll ; -- Begin function _ZL20cpy_scalar_transposeIiEvPKcPclllllllllllllll
	.p2align	8
	.type	_ZL20cpy_scalar_transposeIiEvPKcPclllllllllllllll,@function
_ZL20cpy_scalar_transposeIiEvPKcPclllllllllllllll: ; @_ZL20cpy_scalar_transposeIiEvPKcPclllllllllllllll
; %bb.0:
	s_load_dwordx8 s[12:19], s[4:5], 0x0
	s_load_dwordx2 s[10:11], s[4:5], 0x20
	s_waitcnt lgkmcnt(0)
	s_mul_i32 s0, s10, s19
	s_mul_hi_u32 s1, s10, s18
	s_add_i32 s0, s1, s0
	s_mul_i32 s1, s11, s18
	s_add_i32 s21, s0, s1
	s_mul_i32 s20, s10, s18
	s_or_b64 s[0:1], s[16:17], s[20:21]
	s_mov_b32 s0, 0
	s_cmp_lg_u64 s[0:1], 0
	s_cbranch_scc0 .LBB29_127
; %bb.1:
	s_ashr_i32 s0, s21, 31
	s_add_u32 s2, s20, s0
	s_mov_b32 s1, s0
	s_addc_u32 s3, s21, s0
	s_xor_b64 s[4:5], s[2:3], s[0:1]
	v_cvt_f32_u32_e32 v2, s4
	v_cvt_f32_u32_e32 v3, s5
	s_sub_u32 s9, 0, s4
	s_subb_u32 s24, 0, s5
	v_madmk_f32 v2, v3, 0x4f800000, v2
	v_rcp_f32_e32 v2, v2
	v_mul_f32_e32 v2, 0x5f7ffffc, v2
	v_mul_f32_e32 v3, 0x2f800000, v2
	v_trunc_f32_e32 v3, v3
	v_madmk_f32 v2, v3, 0xcf800000, v2
	v_cvt_u32_f32_e32 v3, v3
	v_cvt_u32_f32_e32 v2, v2
	v_readfirstlane_b32 s25, v3
	v_readfirstlane_b32 s22, v2
	s_mul_i32 s23, s9, s25
	s_mul_hi_u32 s27, s9, s22
	s_mul_i32 s26, s24, s22
	s_add_i32 s23, s27, s23
	s_add_i32 s23, s23, s26
	s_mul_i32 s28, s9, s22
	s_mul_i32 s27, s22, s23
	s_mul_hi_u32 s29, s22, s28
	s_mul_hi_u32 s26, s22, s23
	s_add_u32 s27, s29, s27
	s_addc_u32 s26, 0, s26
	s_mul_hi_u32 s30, s25, s28
	s_mul_i32 s28, s25, s28
	s_add_u32 s27, s27, s28
	s_mul_hi_u32 s29, s25, s23
	s_addc_u32 s26, s26, s30
	s_addc_u32 s27, s29, 0
	s_mul_i32 s23, s25, s23
	s_add_u32 s23, s26, s23
	s_addc_u32 s26, 0, s27
	s_add_u32 s27, s22, s23
	s_cselect_b64 s[22:23], -1, 0
	s_cmp_lg_u64 s[22:23], 0
	s_addc_u32 s25, s25, s26
	s_mul_i32 s22, s9, s25
	s_mul_hi_u32 s23, s9, s27
	s_add_i32 s22, s23, s22
	s_mul_i32 s24, s24, s27
	s_add_i32 s22, s22, s24
	s_mul_i32 s9, s9, s27
	s_mul_hi_u32 s24, s25, s9
	s_mul_i32 s26, s25, s9
	s_mul_i32 s29, s27, s22
	s_mul_hi_u32 s9, s27, s9
	s_mul_hi_u32 s28, s27, s22
	s_add_u32 s9, s9, s29
	s_addc_u32 s28, 0, s28
	s_add_u32 s9, s9, s26
	s_mul_hi_u32 s23, s25, s22
	s_addc_u32 s9, s28, s24
	s_addc_u32 s23, s23, 0
	s_mul_i32 s22, s25, s22
	s_add_u32 s9, s9, s22
	s_addc_u32 s24, 0, s23
	s_add_u32 s9, s27, s9
	s_cselect_b64 s[22:23], -1, 0
	s_cmp_lg_u64 s[22:23], 0
	s_addc_u32 s26, s25, s24
	s_ashr_i32 s22, s17, 31
	s_add_u32 s24, s16, s22
	s_mov_b32 s23, s22
	s_addc_u32 s25, s17, s22
	s_xor_b64 s[24:25], s[24:25], s[22:23]
	s_mul_i32 s27, s24, s26
	s_mul_hi_u32 s28, s24, s9
	s_mul_hi_u32 s17, s24, s26
	s_add_u32 s27, s28, s27
	s_addc_u32 s17, 0, s17
	s_mul_hi_u32 s29, s25, s9
	s_mul_i32 s9, s25, s9
	s_add_u32 s9, s27, s9
	s_mul_hi_u32 s28, s25, s26
	s_addc_u32 s9, s17, s29
	s_addc_u32 s17, s28, 0
	s_mul_i32 s26, s25, s26
	s_add_u32 s9, s9, s26
	s_addc_u32 s17, 0, s17
	s_mul_i32 s26, s4, s17
	s_mul_hi_u32 s27, s4, s9
	s_add_i32 s26, s27, s26
	s_mul_i32 s27, s5, s9
	s_add_i32 s30, s26, s27
	s_sub_i32 s28, s25, s30
	s_mul_i32 s26, s4, s9
	s_sub_u32 s24, s24, s26
	s_cselect_b64 s[26:27], -1, 0
	s_cmp_lg_u64 s[26:27], 0
	s_subb_u32 s31, s28, s5
	s_sub_u32 s33, s24, s4
	s_cselect_b64 s[28:29], -1, 0
	s_cmp_lg_u64 s[28:29], 0
	s_subb_u32 s28, s31, 0
	s_cmp_ge_u32 s28, s5
	s_cselect_b32 s29, -1, 0
	s_cmp_ge_u32 s33, s4
	s_cselect_b32 s31, -1, 0
	s_cmp_eq_u32 s28, s5
	s_cselect_b32 s28, s31, s29
	s_add_u32 s29, s9, 1
	s_addc_u32 s31, s17, 0
	s_add_u32 s33, s9, 2
	s_addc_u32 s34, s17, 0
	s_cmp_lg_u32 s28, 0
	s_cselect_b32 s28, s33, s29
	s_cselect_b32 s29, s34, s31
	s_cmp_lg_u64 s[26:27], 0
	s_subb_u32 s25, s25, s30
	s_cmp_ge_u32 s25, s5
	s_cselect_b32 s26, -1, 0
	s_cmp_ge_u32 s24, s4
	s_cselect_b32 s4, -1, 0
	s_cmp_eq_u32 s25, s5
	s_cselect_b32 s4, s4, s26
	s_cmp_lg_u32 s4, 0
	s_cselect_b32 s5, s29, s17
	s_cselect_b32 s4, s28, s9
	s_xor_b64 s[0:1], s[22:23], s[0:1]
	s_xor_b64 s[4:5], s[4:5], s[0:1]
	s_sub_u32 s22, s4, s0
	s_subb_u32 s23, s5, s1
	s_cbranch_execnz .LBB29_3
.LBB29_2:
	v_cvt_f32_u32_e32 v2, s20
	s_sub_i32 s0, 0, s20
	s_mov_b32 s23, 0
	v_rcp_iflag_f32_e32 v2, v2
	v_mul_f32_e32 v2, 0x4f7ffffe, v2
	v_cvt_u32_f32_e32 v2, v2
	v_readfirstlane_b32 s1, v2
	s_mul_i32 s0, s0, s1
	s_mul_hi_u32 s0, s1, s0
	s_add_i32 s1, s1, s0
	s_mul_hi_u32 s0, s16, s1
	s_mul_i32 s2, s0, s20
	s_sub_i32 s2, s16, s2
	s_add_i32 s1, s0, 1
	s_sub_i32 s3, s2, s20
	s_cmp_ge_u32 s2, s20
	s_cselect_b32 s0, s1, s0
	s_cselect_b32 s2, s3, s2
	s_add_i32 s1, s0, 1
	s_cmp_ge_u32 s2, s20
	s_cselect_b32 s22, s1, s0
.LBB29_3:
	s_lshl_b32 s8, s8, 3
	s_mov_b32 s9, 0
	v_mov_b32_e32 v2, s8
	v_mov_b32_e32 v3, s9
	v_cmp_le_i64_e32 vcc, s[22:23], v[2:3]
	s_cbranch_vccnz .LBB29_126
; %bb.4:
	s_lshl_b32 s9, s6, 5
	v_add_u32_e32 v3, s9, v0
	v_lshlrev_b32_e32 v4, 2, v0
	s_movk_i32 s0, 0x84
	v_mad_u32_u24 v12, v1, s0, v4
	v_ashrrev_i32_e32 v4, 31, v3
	v_cmp_gt_i64_e64 s[0:1], s[10:11], v[3:4]
	v_lshlrev_b64 v[3:4], 2, v[3:4]
	s_lshl_b32 s16, s7, 5
	v_mov_b32_e32 v5, s13
	v_add_co_u32_e32 v14, vcc, s12, v3
	s_mul_i32 s2, s21, s8
	s_mul_hi_u32 s3, s20, s8
	v_add_u32_e32 v2, s16, v1
	v_addc_co_u32_e32 v15, vcc, v5, v4, vcc
	s_add_i32 s7, s3, s2
	s_mul_i32 s6, s20, s8
	s_and_saveexec_b64 s[4:5], s[0:1]
	s_cbranch_execz .LBB29_13
; %bb.5:
	s_lshl_b64 s[2:3], s[6:7], 2
	v_ashrrev_i32_e32 v3, 31, v2
	v_mov_b32_e32 v4, s3
	v_cmp_gt_i64_e32 vcc, s[18:19], v[2:3]
	v_add_co_u32_e64 v5, s[2:3], s2, v14
	v_addc_co_u32_e64 v6, s[2:3], v15, v4, s[2:3]
	s_and_saveexec_b64 s[2:3], vcc
	s_cbranch_execz .LBB29_7
; %bb.6:
	v_mul_lo_u32 v7, s11, v2
	v_mul_lo_u32 v8, s10, v3
	v_mad_u64_u32 v[3:4], s[12:13], s10, v2, 0
	v_add3_u32 v4, v4, v8, v7
	v_lshlrev_b64 v[3:4], 2, v[3:4]
	v_add_co_u32_e32 v3, vcc, v5, v3
	v_addc_co_u32_e32 v4, vcc, v6, v4, vcc
	global_load_dword v3, v[3:4], off
	s_waitcnt vmcnt(0)
	ds_write_b32 v12, v3
.LBB29_7:
	s_or_b64 exec, exec, s[2:3]
	v_add_u32_e32 v3, 8, v2
	v_ashrrev_i32_e32 v4, 31, v3
	v_cmp_gt_i64_e32 vcc, s[18:19], v[3:4]
	s_and_saveexec_b64 s[2:3], vcc
	s_cbranch_execz .LBB29_9
; %bb.8:
	v_mul_lo_u32 v7, s11, v3
	v_mul_lo_u32 v8, s10, v4
	v_mad_u64_u32 v[3:4], s[12:13], s10, v3, 0
	v_add3_u32 v4, v4, v8, v7
	v_lshlrev_b64 v[3:4], 2, v[3:4]
	v_add_co_u32_e32 v3, vcc, v5, v3
	v_addc_co_u32_e32 v4, vcc, v6, v4, vcc
	global_load_dword v3, v[3:4], off
	s_waitcnt vmcnt(0)
	ds_write_b32 v12, v3 offset:1056
.LBB29_9:
	s_or_b64 exec, exec, s[2:3]
	v_add_u32_e32 v3, 16, v2
	v_ashrrev_i32_e32 v4, 31, v3
	v_cmp_gt_i64_e32 vcc, s[18:19], v[3:4]
	s_and_saveexec_b64 s[2:3], vcc
	s_cbranch_execz .LBB29_11
; %bb.10:
	v_mul_lo_u32 v7, s11, v3
	v_mul_lo_u32 v8, s10, v4
	v_mad_u64_u32 v[3:4], s[12:13], s10, v3, 0
	v_add3_u32 v4, v4, v8, v7
	v_lshlrev_b64 v[3:4], 2, v[3:4]
	v_add_co_u32_e32 v3, vcc, v5, v3
	v_addc_co_u32_e32 v4, vcc, v6, v4, vcc
	global_load_dword v3, v[3:4], off
	s_waitcnt vmcnt(0)
	ds_write_b32 v12, v3 offset:2112
.LBB29_11:
	s_or_b64 exec, exec, s[2:3]
	v_add_u32_e32 v3, 24, v2
	v_ashrrev_i32_e32 v4, 31, v3
	v_cmp_gt_i64_e32 vcc, s[18:19], v[3:4]
	s_and_b64 exec, exec, vcc
	s_cbranch_execz .LBB29_13
; %bb.12:
	v_mul_lo_u32 v7, s11, v3
	v_mul_lo_u32 v8, s10, v4
	v_mad_u64_u32 v[3:4], s[2:3], s10, v3, 0
	v_add3_u32 v4, v4, v8, v7
	v_lshlrev_b64 v[3:4], 2, v[3:4]
	v_add_co_u32_e32 v3, vcc, v5, v3
	v_addc_co_u32_e32 v4, vcc, v6, v4, vcc
	global_load_dword v3, v[3:4], off
	s_waitcnt vmcnt(0)
	ds_write_b32 v12, v3 offset:3168
.LBB29_13:
	s_or_b64 exec, exec, s[4:5]
	v_add_u32_e32 v5, s16, v0
	v_add_u32_e32 v4, s9, v1
	v_lshlrev_b32_e32 v1, 2, v1
	s_movk_i32 s2, 0x84
	v_ashrrev_i32_e32 v6, 31, v5
	v_mad_u32_u24 v13, v0, s2, v1
	v_lshlrev_b64 v[0:1], 2, v[5:6]
	v_mov_b32_e32 v3, s15
	v_add_co_u32_e64 v16, s[4:5], s14, v0
	v_cmp_le_i64_e32 vcc, s[18:19], v[5:6]
	v_cmp_gt_i64_e64 s[2:3], s[18:19], v[5:6]
	v_addc_co_u32_e64 v17, s[4:5], v3, v1, s[4:5]
	v_ashrrev_i32_e32 v5, 31, v4
	s_lshl_b64 s[6:7], s[6:7], 2
	v_cmp_gt_i64_e64 s[4:5], s[10:11], v[4:5]
	v_mov_b32_e32 v0, s7
	v_add_co_u32_e64 v3, s[6:7], s6, v16
	v_addc_co_u32_e64 v10, s[6:7], v17, v0, s[6:7]
	s_and_b64 s[4:5], s[4:5], s[2:3]
	s_waitcnt lgkmcnt(0)
	s_barrier
	s_and_saveexec_b64 s[6:7], s[4:5]
	s_cbranch_execz .LBB29_15
; %bb.14:
	v_mul_lo_u32 v6, s19, v4
	v_mul_lo_u32 v7, s18, v5
	v_mad_u64_u32 v[0:1], s[2:3], s18, v4, 0
	ds_read_b32 v8, v13
	v_add3_u32 v1, v1, v7, v6
	v_lshlrev_b64 v[0:1], 2, v[0:1]
	v_add_co_u32_e64 v0, s[2:3], v3, v0
	v_addc_co_u32_e64 v1, s[2:3], v10, v1, s[2:3]
	s_waitcnt lgkmcnt(0)
	global_store_dword v[0:1], v8, off
.LBB29_15:
	s_or_b64 exec, exec, s[6:7]
	v_add_u32_e32 v0, 8, v4
	v_ashrrev_i32_e32 v1, 31, v0
	v_cmp_gt_i64_e64 s[2:3], s[10:11], v[0:1]
	s_xor_b64 s[14:15], vcc, -1
	s_and_b64 s[6:7], s[2:3], s[14:15]
	s_and_saveexec_b64 s[2:3], s[6:7]
	s_cbranch_execz .LBB29_17
; %bb.16:
	v_mul_lo_u32 v8, s19, v0
	v_mul_lo_u32 v9, s18, v1
	v_mad_u64_u32 v[6:7], s[12:13], s18, v0, 0
	ds_read_b32 v11, v13 offset:32
	v_add3_u32 v7, v7, v9, v8
	v_lshlrev_b64 v[6:7], 2, v[6:7]
	v_add_co_u32_e32 v6, vcc, v3, v6
	v_addc_co_u32_e32 v7, vcc, v10, v7, vcc
	s_waitcnt lgkmcnt(0)
	global_store_dword v[6:7], v11, off
.LBB29_17:
	s_or_b64 exec, exec, s[2:3]
	v_add_u32_e32 v6, 16, v4
	v_ashrrev_i32_e32 v7, 31, v6
	v_cmp_gt_i64_e32 vcc, s[10:11], v[6:7]
	s_and_b64 s[12:13], vcc, s[14:15]
	s_and_saveexec_b64 s[2:3], s[12:13]
	s_cbranch_execz .LBB29_19
; %bb.18:
	v_mul_lo_u32 v11, s19, v6
	v_mul_lo_u32 v18, s18, v7
	v_mad_u64_u32 v[8:9], s[16:17], s18, v6, 0
	ds_read_b32 v19, v13 offset:64
	v_add3_u32 v9, v9, v18, v11
	v_lshlrev_b64 v[8:9], 2, v[8:9]
	v_add_co_u32_e32 v8, vcc, v3, v8
	v_addc_co_u32_e32 v9, vcc, v10, v9, vcc
	s_waitcnt lgkmcnt(0)
	global_store_dword v[8:9], v19, off
.LBB29_19:
	s_or_b64 exec, exec, s[2:3]
	v_add_u32_e32 v8, 24, v4
	v_ashrrev_i32_e32 v9, 31, v8
	v_cmp_gt_i64_e32 vcc, s[10:11], v[8:9]
	s_and_b64 s[14:15], vcc, s[14:15]
	s_and_saveexec_b64 s[2:3], s[14:15]
	s_cbranch_execz .LBB29_21
; %bb.20:
	v_mul_lo_u32 v11, s19, v8
	v_mul_lo_u32 v20, s18, v9
	v_mad_u64_u32 v[18:19], s[16:17], s18, v8, 0
	ds_read_b32 v21, v13 offset:96
	v_add3_u32 v19, v19, v20, v11
	v_lshlrev_b64 v[18:19], 2, v[18:19]
	v_add_co_u32_e32 v18, vcc, v3, v18
	v_addc_co_u32_e32 v19, vcc, v10, v19, vcc
	s_waitcnt lgkmcnt(0)
	global_store_dword v[18:19], v21, off
.LBB29_21:
	s_or_b64 exec, exec, s[2:3]
	s_mov_b32 s3, 0
	s_or_b32 s2, s8, 1
	v_mov_b32_e32 v11, s3
	v_mov_b32_e32 v10, s2
	v_cmp_le_u64_e32 vcc, s[22:23], v[10:11]
	s_cbranch_vccnz .LBB29_126
; %bb.22:
	s_mul_i32 s3, s21, s2
	s_mul_hi_u32 s9, s20, s2
	s_add_i32 s17, s9, s3
	s_mul_i32 s16, s20, s2
	s_and_saveexec_b64 s[24:25], s[0:1]
	s_cbranch_execz .LBB29_31
; %bb.23:
	s_lshl_b64 s[2:3], s[16:17], 2
	v_ashrrev_i32_e32 v3, 31, v2
	v_mov_b32_e32 v10, s3
	v_cmp_gt_i64_e32 vcc, s[18:19], v[2:3]
	v_add_co_u32_e64 v18, s[2:3], s2, v14
	v_addc_co_u32_e64 v19, s[2:3], v15, v10, s[2:3]
	s_and_saveexec_b64 s[2:3], vcc
	s_cbranch_execz .LBB29_25
; %bb.24:
	v_mul_lo_u32 v20, s11, v2
	v_mul_lo_u32 v3, s10, v3
	v_mad_u64_u32 v[10:11], s[26:27], s10, v2, 0
	v_add3_u32 v11, v11, v3, v20
	v_lshlrev_b64 v[10:11], 2, v[10:11]
	v_add_co_u32_e32 v10, vcc, v18, v10
	v_addc_co_u32_e32 v11, vcc, v19, v11, vcc
	global_load_dword v3, v[10:11], off
	s_waitcnt vmcnt(0)
	ds_write_b32 v12, v3 offset:4224
.LBB29_25:
	s_or_b64 exec, exec, s[2:3]
	v_add_u32_e32 v10, 8, v2
	v_ashrrev_i32_e32 v11, 31, v10
	v_cmp_gt_i64_e32 vcc, s[18:19], v[10:11]
	s_and_saveexec_b64 s[2:3], vcc
	s_cbranch_execz .LBB29_27
; %bb.26:
	v_mul_lo_u32 v3, s11, v10
	v_mul_lo_u32 v20, s10, v11
	v_mad_u64_u32 v[10:11], s[26:27], s10, v10, 0
	v_add3_u32 v11, v11, v20, v3
	v_lshlrev_b64 v[10:11], 2, v[10:11]
	v_add_co_u32_e32 v10, vcc, v18, v10
	v_addc_co_u32_e32 v11, vcc, v19, v11, vcc
	global_load_dword v3, v[10:11], off
	s_waitcnt vmcnt(0)
	ds_write_b32 v12, v3 offset:5280
.LBB29_27:
	s_or_b64 exec, exec, s[2:3]
	v_add_u32_e32 v10, 16, v2
	v_ashrrev_i32_e32 v11, 31, v10
	v_cmp_gt_i64_e32 vcc, s[18:19], v[10:11]
	;; [unrolled: 18-line block ×3, first 2 shown]
	s_and_b64 exec, exec, vcc
	s_cbranch_execz .LBB29_31
; %bb.30:
	v_mul_lo_u32 v3, s11, v10
	v_mul_lo_u32 v20, s10, v11
	v_mad_u64_u32 v[10:11], s[2:3], s10, v10, 0
	v_add3_u32 v11, v11, v20, v3
	v_lshlrev_b64 v[10:11], 2, v[10:11]
	v_add_co_u32_e32 v10, vcc, v18, v10
	v_addc_co_u32_e32 v11, vcc, v19, v11, vcc
	global_load_dword v3, v[10:11], off
	s_waitcnt vmcnt(0)
	ds_write_b32 v12, v3 offset:7392
.LBB29_31:
	s_or_b64 exec, exec, s[24:25]
	s_lshl_b64 s[2:3], s[16:17], 2
	v_mov_b32_e32 v10, s3
	v_add_co_u32_e32 v3, vcc, s2, v16
	v_addc_co_u32_e32 v10, vcc, v17, v10, vcc
	s_waitcnt vmcnt(0) lgkmcnt(0)
	s_barrier
	s_and_saveexec_b64 s[2:3], s[4:5]
	s_cbranch_execnz .LBB29_128
; %bb.32:
	s_or_b64 exec, exec, s[2:3]
	s_and_saveexec_b64 s[2:3], s[6:7]
	s_cbranch_execnz .LBB29_129
.LBB29_33:
	s_or_b64 exec, exec, s[2:3]
	s_and_saveexec_b64 s[2:3], s[12:13]
	s_cbranch_execnz .LBB29_130
.LBB29_34:
	s_or_b64 exec, exec, s[2:3]
	s_and_saveexec_b64 s[2:3], s[14:15]
	s_cbranch_execz .LBB29_36
.LBB29_35:
	v_mul_lo_u32 v11, s19, v8
	v_mul_lo_u32 v20, s18, v9
	v_mad_u64_u32 v[18:19], s[16:17], s18, v8, 0
	ds_read_b32 v21, v13 offset:4320
	v_add3_u32 v19, v19, v20, v11
	v_lshlrev_b64 v[18:19], 2, v[18:19]
	v_add_co_u32_e32 v18, vcc, v3, v18
	v_addc_co_u32_e32 v19, vcc, v10, v19, vcc
	s_waitcnt lgkmcnt(0)
	global_store_dword v[18:19], v21, off
.LBB29_36:
	s_or_b64 exec, exec, s[2:3]
	s_mov_b32 s3, 0
	s_or_b32 s2, s8, 2
	v_mov_b32_e32 v11, s3
	v_mov_b32_e32 v10, s2
	v_cmp_le_u64_e32 vcc, s[22:23], v[10:11]
	s_cbranch_vccnz .LBB29_126
; %bb.37:
	s_mul_i32 s3, s21, s2
	s_mul_hi_u32 s9, s20, s2
	s_add_i32 s17, s9, s3
	s_mul_i32 s16, s20, s2
	s_and_saveexec_b64 s[24:25], s[0:1]
	s_cbranch_execz .LBB29_46
; %bb.38:
	s_lshl_b64 s[2:3], s[16:17], 2
	v_ashrrev_i32_e32 v3, 31, v2
	v_mov_b32_e32 v10, s3
	v_cmp_gt_i64_e32 vcc, s[18:19], v[2:3]
	v_add_co_u32_e64 v18, s[2:3], s2, v14
	v_addc_co_u32_e64 v19, s[2:3], v15, v10, s[2:3]
	s_and_saveexec_b64 s[2:3], vcc
	s_cbranch_execz .LBB29_40
; %bb.39:
	v_mul_lo_u32 v20, s11, v2
	v_mul_lo_u32 v3, s10, v3
	v_mad_u64_u32 v[10:11], s[26:27], s10, v2, 0
	v_add3_u32 v11, v11, v3, v20
	v_lshlrev_b64 v[10:11], 2, v[10:11]
	v_add_co_u32_e32 v10, vcc, v18, v10
	v_addc_co_u32_e32 v11, vcc, v19, v11, vcc
	global_load_dword v3, v[10:11], off
	s_waitcnt vmcnt(0)
	ds_write_b32 v12, v3
.LBB29_40:
	s_or_b64 exec, exec, s[2:3]
	v_add_u32_e32 v10, 8, v2
	v_ashrrev_i32_e32 v11, 31, v10
	v_cmp_gt_i64_e32 vcc, s[18:19], v[10:11]
	s_and_saveexec_b64 s[2:3], vcc
	s_cbranch_execz .LBB29_42
; %bb.41:
	v_mul_lo_u32 v3, s11, v10
	v_mul_lo_u32 v20, s10, v11
	v_mad_u64_u32 v[10:11], s[26:27], s10, v10, 0
	v_add3_u32 v11, v11, v20, v3
	v_lshlrev_b64 v[10:11], 2, v[10:11]
	v_add_co_u32_e32 v10, vcc, v18, v10
	v_addc_co_u32_e32 v11, vcc, v19, v11, vcc
	global_load_dword v3, v[10:11], off
	s_waitcnt vmcnt(0)
	ds_write_b32 v12, v3 offset:1056
.LBB29_42:
	s_or_b64 exec, exec, s[2:3]
	v_add_u32_e32 v10, 16, v2
	v_ashrrev_i32_e32 v11, 31, v10
	v_cmp_gt_i64_e32 vcc, s[18:19], v[10:11]
	s_and_saveexec_b64 s[2:3], vcc
	s_cbranch_execz .LBB29_44
; %bb.43:
	v_mul_lo_u32 v3, s11, v10
	v_mul_lo_u32 v20, s10, v11
	v_mad_u64_u32 v[10:11], s[26:27], s10, v10, 0
	v_add3_u32 v11, v11, v20, v3
	v_lshlrev_b64 v[10:11], 2, v[10:11]
	v_add_co_u32_e32 v10, vcc, v18, v10
	v_addc_co_u32_e32 v11, vcc, v19, v11, vcc
	global_load_dword v3, v[10:11], off
	s_waitcnt vmcnt(0)
	ds_write_b32 v12, v3 offset:2112
.LBB29_44:
	s_or_b64 exec, exec, s[2:3]
	v_add_u32_e32 v10, 24, v2
	v_ashrrev_i32_e32 v11, 31, v10
	v_cmp_gt_i64_e32 vcc, s[18:19], v[10:11]
	s_and_b64 exec, exec, vcc
	s_cbranch_execz .LBB29_46
; %bb.45:
	v_mul_lo_u32 v3, s11, v10
	v_mul_lo_u32 v20, s10, v11
	v_mad_u64_u32 v[10:11], s[2:3], s10, v10, 0
	v_add3_u32 v11, v11, v20, v3
	v_lshlrev_b64 v[10:11], 2, v[10:11]
	v_add_co_u32_e32 v10, vcc, v18, v10
	v_addc_co_u32_e32 v11, vcc, v19, v11, vcc
	global_load_dword v3, v[10:11], off
	s_waitcnt vmcnt(0)
	ds_write_b32 v12, v3 offset:3168
.LBB29_46:
	s_or_b64 exec, exec, s[24:25]
	s_lshl_b64 s[2:3], s[16:17], 2
	v_mov_b32_e32 v10, s3
	v_add_co_u32_e32 v3, vcc, s2, v16
	v_addc_co_u32_e32 v10, vcc, v17, v10, vcc
	s_waitcnt vmcnt(0) lgkmcnt(0)
	s_barrier
	s_and_saveexec_b64 s[2:3], s[4:5]
	s_cbranch_execnz .LBB29_131
; %bb.47:
	s_or_b64 exec, exec, s[2:3]
	s_and_saveexec_b64 s[2:3], s[6:7]
	s_cbranch_execnz .LBB29_132
.LBB29_48:
	s_or_b64 exec, exec, s[2:3]
	s_and_saveexec_b64 s[2:3], s[12:13]
	s_cbranch_execnz .LBB29_133
.LBB29_49:
	s_or_b64 exec, exec, s[2:3]
	s_and_saveexec_b64 s[2:3], s[14:15]
	s_cbranch_execz .LBB29_51
.LBB29_50:
	v_mul_lo_u32 v11, s19, v8
	v_mul_lo_u32 v20, s18, v9
	v_mad_u64_u32 v[18:19], s[16:17], s18, v8, 0
	ds_read_b32 v21, v13 offset:96
	v_add3_u32 v19, v19, v20, v11
	v_lshlrev_b64 v[18:19], 2, v[18:19]
	v_add_co_u32_e32 v18, vcc, v3, v18
	v_addc_co_u32_e32 v19, vcc, v10, v19, vcc
	s_waitcnt lgkmcnt(0)
	global_store_dword v[18:19], v21, off
.LBB29_51:
	s_or_b64 exec, exec, s[2:3]
	s_mov_b32 s3, 0
	s_or_b32 s2, s8, 3
	v_mov_b32_e32 v11, s3
	v_mov_b32_e32 v10, s2
	v_cmp_le_u64_e32 vcc, s[22:23], v[10:11]
	s_cbranch_vccnz .LBB29_126
; %bb.52:
	s_mul_i32 s3, s21, s2
	s_mul_hi_u32 s9, s20, s2
	s_add_i32 s17, s9, s3
	s_mul_i32 s16, s20, s2
	s_and_saveexec_b64 s[24:25], s[0:1]
	s_cbranch_execz .LBB29_61
; %bb.53:
	s_lshl_b64 s[2:3], s[16:17], 2
	v_ashrrev_i32_e32 v3, 31, v2
	v_mov_b32_e32 v10, s3
	v_cmp_gt_i64_e32 vcc, s[18:19], v[2:3]
	v_add_co_u32_e64 v18, s[2:3], s2, v14
	v_addc_co_u32_e64 v19, s[2:3], v15, v10, s[2:3]
	s_and_saveexec_b64 s[2:3], vcc
	s_cbranch_execz .LBB29_55
; %bb.54:
	v_mul_lo_u32 v20, s11, v2
	v_mul_lo_u32 v3, s10, v3
	v_mad_u64_u32 v[10:11], s[26:27], s10, v2, 0
	v_add3_u32 v11, v11, v3, v20
	v_lshlrev_b64 v[10:11], 2, v[10:11]
	v_add_co_u32_e32 v10, vcc, v18, v10
	v_addc_co_u32_e32 v11, vcc, v19, v11, vcc
	global_load_dword v3, v[10:11], off
	s_waitcnt vmcnt(0)
	ds_write_b32 v12, v3 offset:4224
.LBB29_55:
	s_or_b64 exec, exec, s[2:3]
	v_add_u32_e32 v10, 8, v2
	v_ashrrev_i32_e32 v11, 31, v10
	v_cmp_gt_i64_e32 vcc, s[18:19], v[10:11]
	s_and_saveexec_b64 s[2:3], vcc
	s_cbranch_execz .LBB29_57
; %bb.56:
	v_mul_lo_u32 v3, s11, v10
	v_mul_lo_u32 v20, s10, v11
	v_mad_u64_u32 v[10:11], s[26:27], s10, v10, 0
	v_add3_u32 v11, v11, v20, v3
	v_lshlrev_b64 v[10:11], 2, v[10:11]
	v_add_co_u32_e32 v10, vcc, v18, v10
	v_addc_co_u32_e32 v11, vcc, v19, v11, vcc
	global_load_dword v3, v[10:11], off
	s_waitcnt vmcnt(0)
	ds_write_b32 v12, v3 offset:5280
.LBB29_57:
	s_or_b64 exec, exec, s[2:3]
	v_add_u32_e32 v10, 16, v2
	v_ashrrev_i32_e32 v11, 31, v10
	v_cmp_gt_i64_e32 vcc, s[18:19], v[10:11]
	;; [unrolled: 18-line block ×3, first 2 shown]
	s_and_b64 exec, exec, vcc
	s_cbranch_execz .LBB29_61
; %bb.60:
	v_mul_lo_u32 v3, s11, v10
	v_mul_lo_u32 v20, s10, v11
	v_mad_u64_u32 v[10:11], s[2:3], s10, v10, 0
	v_add3_u32 v11, v11, v20, v3
	v_lshlrev_b64 v[10:11], 2, v[10:11]
	v_add_co_u32_e32 v10, vcc, v18, v10
	v_addc_co_u32_e32 v11, vcc, v19, v11, vcc
	global_load_dword v3, v[10:11], off
	s_waitcnt vmcnt(0)
	ds_write_b32 v12, v3 offset:7392
.LBB29_61:
	s_or_b64 exec, exec, s[24:25]
	s_lshl_b64 s[2:3], s[16:17], 2
	v_mov_b32_e32 v10, s3
	v_add_co_u32_e32 v3, vcc, s2, v16
	v_addc_co_u32_e32 v10, vcc, v17, v10, vcc
	s_waitcnt vmcnt(0) lgkmcnt(0)
	s_barrier
	s_and_saveexec_b64 s[2:3], s[4:5]
	s_cbranch_execnz .LBB29_134
; %bb.62:
	s_or_b64 exec, exec, s[2:3]
	s_and_saveexec_b64 s[2:3], s[6:7]
	s_cbranch_execnz .LBB29_135
.LBB29_63:
	s_or_b64 exec, exec, s[2:3]
	s_and_saveexec_b64 s[2:3], s[12:13]
	s_cbranch_execnz .LBB29_136
.LBB29_64:
	s_or_b64 exec, exec, s[2:3]
	s_and_saveexec_b64 s[2:3], s[14:15]
	s_cbranch_execz .LBB29_66
.LBB29_65:
	v_mul_lo_u32 v11, s19, v8
	v_mul_lo_u32 v20, s18, v9
	v_mad_u64_u32 v[18:19], s[16:17], s18, v8, 0
	ds_read_b32 v21, v13 offset:4320
	v_add3_u32 v19, v19, v20, v11
	v_lshlrev_b64 v[18:19], 2, v[18:19]
	v_add_co_u32_e32 v18, vcc, v3, v18
	v_addc_co_u32_e32 v19, vcc, v10, v19, vcc
	s_waitcnt lgkmcnt(0)
	global_store_dword v[18:19], v21, off
.LBB29_66:
	s_or_b64 exec, exec, s[2:3]
	s_mov_b32 s3, 0
	s_or_b32 s2, s8, 4
	v_mov_b32_e32 v11, s3
	v_mov_b32_e32 v10, s2
	v_cmp_le_u64_e32 vcc, s[22:23], v[10:11]
	s_cbranch_vccnz .LBB29_126
; %bb.67:
	s_mul_i32 s3, s21, s2
	s_mul_hi_u32 s9, s20, s2
	s_add_i32 s17, s9, s3
	s_mul_i32 s16, s20, s2
	s_and_saveexec_b64 s[24:25], s[0:1]
	s_cbranch_execz .LBB29_76
; %bb.68:
	s_lshl_b64 s[2:3], s[16:17], 2
	v_ashrrev_i32_e32 v3, 31, v2
	v_mov_b32_e32 v10, s3
	v_cmp_gt_i64_e32 vcc, s[18:19], v[2:3]
	v_add_co_u32_e64 v18, s[2:3], s2, v14
	v_addc_co_u32_e64 v19, s[2:3], v15, v10, s[2:3]
	s_and_saveexec_b64 s[2:3], vcc
	s_cbranch_execz .LBB29_70
; %bb.69:
	v_mul_lo_u32 v20, s11, v2
	v_mul_lo_u32 v3, s10, v3
	v_mad_u64_u32 v[10:11], s[26:27], s10, v2, 0
	v_add3_u32 v11, v11, v3, v20
	v_lshlrev_b64 v[10:11], 2, v[10:11]
	v_add_co_u32_e32 v10, vcc, v18, v10
	v_addc_co_u32_e32 v11, vcc, v19, v11, vcc
	global_load_dword v3, v[10:11], off
	s_waitcnt vmcnt(0)
	ds_write_b32 v12, v3
.LBB29_70:
	s_or_b64 exec, exec, s[2:3]
	v_add_u32_e32 v10, 8, v2
	v_ashrrev_i32_e32 v11, 31, v10
	v_cmp_gt_i64_e32 vcc, s[18:19], v[10:11]
	s_and_saveexec_b64 s[2:3], vcc
	s_cbranch_execz .LBB29_72
; %bb.71:
	v_mul_lo_u32 v3, s11, v10
	v_mul_lo_u32 v20, s10, v11
	v_mad_u64_u32 v[10:11], s[26:27], s10, v10, 0
	v_add3_u32 v11, v11, v20, v3
	v_lshlrev_b64 v[10:11], 2, v[10:11]
	v_add_co_u32_e32 v10, vcc, v18, v10
	v_addc_co_u32_e32 v11, vcc, v19, v11, vcc
	global_load_dword v3, v[10:11], off
	s_waitcnt vmcnt(0)
	ds_write_b32 v12, v3 offset:1056
.LBB29_72:
	s_or_b64 exec, exec, s[2:3]
	v_add_u32_e32 v10, 16, v2
	v_ashrrev_i32_e32 v11, 31, v10
	v_cmp_gt_i64_e32 vcc, s[18:19], v[10:11]
	s_and_saveexec_b64 s[2:3], vcc
	s_cbranch_execz .LBB29_74
; %bb.73:
	v_mul_lo_u32 v3, s11, v10
	v_mul_lo_u32 v20, s10, v11
	v_mad_u64_u32 v[10:11], s[26:27], s10, v10, 0
	v_add3_u32 v11, v11, v20, v3
	v_lshlrev_b64 v[10:11], 2, v[10:11]
	v_add_co_u32_e32 v10, vcc, v18, v10
	v_addc_co_u32_e32 v11, vcc, v19, v11, vcc
	global_load_dword v3, v[10:11], off
	s_waitcnt vmcnt(0)
	ds_write_b32 v12, v3 offset:2112
.LBB29_74:
	s_or_b64 exec, exec, s[2:3]
	v_add_u32_e32 v10, 24, v2
	v_ashrrev_i32_e32 v11, 31, v10
	v_cmp_gt_i64_e32 vcc, s[18:19], v[10:11]
	s_and_b64 exec, exec, vcc
	s_cbranch_execz .LBB29_76
; %bb.75:
	v_mul_lo_u32 v3, s11, v10
	v_mul_lo_u32 v20, s10, v11
	v_mad_u64_u32 v[10:11], s[2:3], s10, v10, 0
	v_add3_u32 v11, v11, v20, v3
	v_lshlrev_b64 v[10:11], 2, v[10:11]
	v_add_co_u32_e32 v10, vcc, v18, v10
	v_addc_co_u32_e32 v11, vcc, v19, v11, vcc
	global_load_dword v3, v[10:11], off
	s_waitcnt vmcnt(0)
	ds_write_b32 v12, v3 offset:3168
.LBB29_76:
	s_or_b64 exec, exec, s[24:25]
	s_lshl_b64 s[2:3], s[16:17], 2
	v_mov_b32_e32 v10, s3
	v_add_co_u32_e32 v3, vcc, s2, v16
	v_addc_co_u32_e32 v10, vcc, v17, v10, vcc
	s_waitcnt vmcnt(0) lgkmcnt(0)
	s_barrier
	s_and_saveexec_b64 s[2:3], s[4:5]
	s_cbranch_execnz .LBB29_137
; %bb.77:
	s_or_b64 exec, exec, s[2:3]
	s_and_saveexec_b64 s[2:3], s[6:7]
	s_cbranch_execnz .LBB29_138
.LBB29_78:
	s_or_b64 exec, exec, s[2:3]
	s_and_saveexec_b64 s[2:3], s[12:13]
	s_cbranch_execnz .LBB29_139
.LBB29_79:
	s_or_b64 exec, exec, s[2:3]
	s_and_saveexec_b64 s[2:3], s[14:15]
	s_cbranch_execz .LBB29_81
.LBB29_80:
	v_mul_lo_u32 v11, s19, v8
	v_mul_lo_u32 v20, s18, v9
	v_mad_u64_u32 v[18:19], s[16:17], s18, v8, 0
	ds_read_b32 v21, v13 offset:96
	v_add3_u32 v19, v19, v20, v11
	v_lshlrev_b64 v[18:19], 2, v[18:19]
	v_add_co_u32_e32 v18, vcc, v3, v18
	v_addc_co_u32_e32 v19, vcc, v10, v19, vcc
	s_waitcnt lgkmcnt(0)
	global_store_dword v[18:19], v21, off
.LBB29_81:
	s_or_b64 exec, exec, s[2:3]
	s_mov_b32 s3, 0
	s_or_b32 s2, s8, 5
	v_mov_b32_e32 v11, s3
	v_mov_b32_e32 v10, s2
	v_cmp_le_u64_e32 vcc, s[22:23], v[10:11]
	s_cbranch_vccnz .LBB29_126
; %bb.82:
	s_mul_i32 s3, s21, s2
	s_mul_hi_u32 s9, s20, s2
	s_add_i32 s17, s9, s3
	s_mul_i32 s16, s20, s2
	s_and_saveexec_b64 s[24:25], s[0:1]
	s_cbranch_execz .LBB29_91
; %bb.83:
	s_lshl_b64 s[2:3], s[16:17], 2
	v_ashrrev_i32_e32 v3, 31, v2
	v_mov_b32_e32 v10, s3
	v_cmp_gt_i64_e32 vcc, s[18:19], v[2:3]
	v_add_co_u32_e64 v18, s[2:3], s2, v14
	v_addc_co_u32_e64 v19, s[2:3], v15, v10, s[2:3]
	s_and_saveexec_b64 s[2:3], vcc
	s_cbranch_execz .LBB29_85
; %bb.84:
	v_mul_lo_u32 v20, s11, v2
	v_mul_lo_u32 v3, s10, v3
	v_mad_u64_u32 v[10:11], s[26:27], s10, v2, 0
	v_add3_u32 v11, v11, v3, v20
	v_lshlrev_b64 v[10:11], 2, v[10:11]
	v_add_co_u32_e32 v10, vcc, v18, v10
	v_addc_co_u32_e32 v11, vcc, v19, v11, vcc
	global_load_dword v3, v[10:11], off
	s_waitcnt vmcnt(0)
	ds_write_b32 v12, v3 offset:4224
.LBB29_85:
	s_or_b64 exec, exec, s[2:3]
	v_add_u32_e32 v10, 8, v2
	v_ashrrev_i32_e32 v11, 31, v10
	v_cmp_gt_i64_e32 vcc, s[18:19], v[10:11]
	s_and_saveexec_b64 s[2:3], vcc
	s_cbranch_execz .LBB29_87
; %bb.86:
	v_mul_lo_u32 v3, s11, v10
	v_mul_lo_u32 v20, s10, v11
	v_mad_u64_u32 v[10:11], s[26:27], s10, v10, 0
	v_add3_u32 v11, v11, v20, v3
	v_lshlrev_b64 v[10:11], 2, v[10:11]
	v_add_co_u32_e32 v10, vcc, v18, v10
	v_addc_co_u32_e32 v11, vcc, v19, v11, vcc
	global_load_dword v3, v[10:11], off
	s_waitcnt vmcnt(0)
	ds_write_b32 v12, v3 offset:5280
.LBB29_87:
	s_or_b64 exec, exec, s[2:3]
	v_add_u32_e32 v10, 16, v2
	v_ashrrev_i32_e32 v11, 31, v10
	v_cmp_gt_i64_e32 vcc, s[18:19], v[10:11]
	;; [unrolled: 18-line block ×3, first 2 shown]
	s_and_b64 exec, exec, vcc
	s_cbranch_execz .LBB29_91
; %bb.90:
	v_mul_lo_u32 v3, s11, v10
	v_mul_lo_u32 v20, s10, v11
	v_mad_u64_u32 v[10:11], s[2:3], s10, v10, 0
	v_add3_u32 v11, v11, v20, v3
	v_lshlrev_b64 v[10:11], 2, v[10:11]
	v_add_co_u32_e32 v10, vcc, v18, v10
	v_addc_co_u32_e32 v11, vcc, v19, v11, vcc
	global_load_dword v3, v[10:11], off
	s_waitcnt vmcnt(0)
	ds_write_b32 v12, v3 offset:7392
.LBB29_91:
	s_or_b64 exec, exec, s[24:25]
	s_lshl_b64 s[2:3], s[16:17], 2
	v_mov_b32_e32 v10, s3
	v_add_co_u32_e32 v3, vcc, s2, v16
	v_addc_co_u32_e32 v10, vcc, v17, v10, vcc
	s_waitcnt vmcnt(0) lgkmcnt(0)
	s_barrier
	s_and_saveexec_b64 s[2:3], s[4:5]
	s_cbranch_execnz .LBB29_140
; %bb.92:
	s_or_b64 exec, exec, s[2:3]
	s_and_saveexec_b64 s[2:3], s[6:7]
	s_cbranch_execnz .LBB29_141
.LBB29_93:
	s_or_b64 exec, exec, s[2:3]
	s_and_saveexec_b64 s[2:3], s[12:13]
	s_cbranch_execnz .LBB29_142
.LBB29_94:
	s_or_b64 exec, exec, s[2:3]
	s_and_saveexec_b64 s[2:3], s[14:15]
	s_cbranch_execz .LBB29_96
.LBB29_95:
	v_mul_lo_u32 v11, s19, v8
	v_mul_lo_u32 v20, s18, v9
	v_mad_u64_u32 v[18:19], s[16:17], s18, v8, 0
	ds_read_b32 v21, v13 offset:4320
	v_add3_u32 v19, v19, v20, v11
	v_lshlrev_b64 v[18:19], 2, v[18:19]
	v_add_co_u32_e32 v18, vcc, v3, v18
	v_addc_co_u32_e32 v19, vcc, v10, v19, vcc
	s_waitcnt lgkmcnt(0)
	global_store_dword v[18:19], v21, off
.LBB29_96:
	s_or_b64 exec, exec, s[2:3]
	s_mov_b32 s3, 0
	s_or_b32 s2, s8, 6
	v_mov_b32_e32 v11, s3
	v_mov_b32_e32 v10, s2
	v_cmp_le_u64_e32 vcc, s[22:23], v[10:11]
	s_cbranch_vccnz .LBB29_126
; %bb.97:
	s_mul_i32 s3, s21, s2
	s_mul_hi_u32 s9, s20, s2
	s_add_i32 s17, s9, s3
	s_mul_i32 s16, s20, s2
	s_and_saveexec_b64 s[24:25], s[0:1]
	s_cbranch_execz .LBB29_106
; %bb.98:
	s_lshl_b64 s[2:3], s[16:17], 2
	v_ashrrev_i32_e32 v3, 31, v2
	v_mov_b32_e32 v10, s3
	v_cmp_gt_i64_e32 vcc, s[18:19], v[2:3]
	v_add_co_u32_e64 v18, s[2:3], s2, v14
	v_addc_co_u32_e64 v19, s[2:3], v15, v10, s[2:3]
	s_and_saveexec_b64 s[2:3], vcc
	s_cbranch_execz .LBB29_100
; %bb.99:
	v_mul_lo_u32 v20, s11, v2
	v_mul_lo_u32 v3, s10, v3
	v_mad_u64_u32 v[10:11], s[26:27], s10, v2, 0
	v_add3_u32 v11, v11, v3, v20
	v_lshlrev_b64 v[10:11], 2, v[10:11]
	v_add_co_u32_e32 v10, vcc, v18, v10
	v_addc_co_u32_e32 v11, vcc, v19, v11, vcc
	global_load_dword v3, v[10:11], off
	s_waitcnt vmcnt(0)
	ds_write_b32 v12, v3
.LBB29_100:
	s_or_b64 exec, exec, s[2:3]
	v_add_u32_e32 v10, 8, v2
	v_ashrrev_i32_e32 v11, 31, v10
	v_cmp_gt_i64_e32 vcc, s[18:19], v[10:11]
	s_and_saveexec_b64 s[2:3], vcc
	s_cbranch_execz .LBB29_102
; %bb.101:
	v_mul_lo_u32 v3, s11, v10
	v_mul_lo_u32 v20, s10, v11
	v_mad_u64_u32 v[10:11], s[26:27], s10, v10, 0
	v_add3_u32 v11, v11, v20, v3
	v_lshlrev_b64 v[10:11], 2, v[10:11]
	v_add_co_u32_e32 v10, vcc, v18, v10
	v_addc_co_u32_e32 v11, vcc, v19, v11, vcc
	global_load_dword v3, v[10:11], off
	s_waitcnt vmcnt(0)
	ds_write_b32 v12, v3 offset:1056
.LBB29_102:
	s_or_b64 exec, exec, s[2:3]
	v_add_u32_e32 v10, 16, v2
	v_ashrrev_i32_e32 v11, 31, v10
	v_cmp_gt_i64_e32 vcc, s[18:19], v[10:11]
	s_and_saveexec_b64 s[2:3], vcc
	s_cbranch_execz .LBB29_104
; %bb.103:
	v_mul_lo_u32 v3, s11, v10
	v_mul_lo_u32 v20, s10, v11
	v_mad_u64_u32 v[10:11], s[26:27], s10, v10, 0
	v_add3_u32 v11, v11, v20, v3
	v_lshlrev_b64 v[10:11], 2, v[10:11]
	v_add_co_u32_e32 v10, vcc, v18, v10
	v_addc_co_u32_e32 v11, vcc, v19, v11, vcc
	global_load_dword v3, v[10:11], off
	s_waitcnt vmcnt(0)
	ds_write_b32 v12, v3 offset:2112
.LBB29_104:
	s_or_b64 exec, exec, s[2:3]
	v_add_u32_e32 v10, 24, v2
	v_ashrrev_i32_e32 v11, 31, v10
	v_cmp_gt_i64_e32 vcc, s[18:19], v[10:11]
	s_and_b64 exec, exec, vcc
	s_cbranch_execz .LBB29_106
; %bb.105:
	v_mul_lo_u32 v3, s11, v10
	v_mul_lo_u32 v20, s10, v11
	v_mad_u64_u32 v[10:11], s[2:3], s10, v10, 0
	v_add3_u32 v11, v11, v20, v3
	v_lshlrev_b64 v[10:11], 2, v[10:11]
	v_add_co_u32_e32 v10, vcc, v18, v10
	v_addc_co_u32_e32 v11, vcc, v19, v11, vcc
	global_load_dword v3, v[10:11], off
	s_waitcnt vmcnt(0)
	ds_write_b32 v12, v3 offset:3168
.LBB29_106:
	s_or_b64 exec, exec, s[24:25]
	s_lshl_b64 s[2:3], s[16:17], 2
	v_mov_b32_e32 v10, s3
	v_add_co_u32_e32 v3, vcc, s2, v16
	v_addc_co_u32_e32 v10, vcc, v17, v10, vcc
	s_waitcnt vmcnt(0) lgkmcnt(0)
	s_barrier
	s_and_saveexec_b64 s[2:3], s[4:5]
	s_cbranch_execnz .LBB29_143
; %bb.107:
	s_or_b64 exec, exec, s[2:3]
	s_and_saveexec_b64 s[2:3], s[6:7]
	s_cbranch_execnz .LBB29_144
.LBB29_108:
	s_or_b64 exec, exec, s[2:3]
	s_and_saveexec_b64 s[2:3], s[12:13]
	s_cbranch_execnz .LBB29_145
.LBB29_109:
	s_or_b64 exec, exec, s[2:3]
	s_and_saveexec_b64 s[2:3], s[14:15]
	s_cbranch_execz .LBB29_111
.LBB29_110:
	v_mul_lo_u32 v11, s19, v8
	v_mul_lo_u32 v20, s18, v9
	v_mad_u64_u32 v[18:19], s[16:17], s18, v8, 0
	ds_read_b32 v21, v13 offset:96
	v_add3_u32 v19, v19, v20, v11
	v_lshlrev_b64 v[18:19], 2, v[18:19]
	v_add_co_u32_e32 v18, vcc, v3, v18
	v_addc_co_u32_e32 v19, vcc, v10, v19, vcc
	s_waitcnt lgkmcnt(0)
	global_store_dword v[18:19], v21, off
.LBB29_111:
	s_or_b64 exec, exec, s[2:3]
	s_mov_b32 s3, 0
	s_or_b32 s2, s8, 7
	v_mov_b32_e32 v11, s3
	v_mov_b32_e32 v10, s2
	v_cmp_le_u64_e32 vcc, s[22:23], v[10:11]
	s_cbranch_vccnz .LBB29_126
; %bb.112:
	s_mul_i32 s3, s21, s2
	s_mul_hi_u32 s8, s20, s2
	s_add_i32 s3, s8, s3
	s_mul_i32 s2, s20, s2
	s_and_saveexec_b64 s[8:9], s[0:1]
	s_cbranch_execz .LBB29_121
; %bb.113:
	s_lshl_b64 s[0:1], s[2:3], 2
	v_ashrrev_i32_e32 v3, 31, v2
	v_mov_b32_e32 v10, s1
	v_cmp_gt_i64_e32 vcc, s[18:19], v[2:3]
	v_add_co_u32_e64 v14, s[0:1], s0, v14
	v_addc_co_u32_e64 v15, s[0:1], v15, v10, s[0:1]
	s_and_saveexec_b64 s[0:1], vcc
	s_cbranch_execz .LBB29_115
; %bb.114:
	v_mul_lo_u32 v18, s11, v2
	v_mul_lo_u32 v3, s10, v3
	v_mad_u64_u32 v[10:11], s[16:17], s10, v2, 0
	v_add3_u32 v11, v11, v3, v18
	v_lshlrev_b64 v[10:11], 2, v[10:11]
	v_add_co_u32_e32 v10, vcc, v14, v10
	v_addc_co_u32_e32 v11, vcc, v15, v11, vcc
	global_load_dword v3, v[10:11], off
	s_waitcnt vmcnt(0)
	ds_write_b32 v12, v3 offset:4224
.LBB29_115:
	s_or_b64 exec, exec, s[0:1]
	v_add_u32_e32 v10, 8, v2
	v_ashrrev_i32_e32 v11, 31, v10
	v_cmp_gt_i64_e32 vcc, s[18:19], v[10:11]
	s_and_saveexec_b64 s[0:1], vcc
	s_cbranch_execz .LBB29_117
; %bb.116:
	v_mul_lo_u32 v3, s11, v10
	v_mul_lo_u32 v18, s10, v11
	v_mad_u64_u32 v[10:11], s[16:17], s10, v10, 0
	v_add3_u32 v11, v11, v18, v3
	v_lshlrev_b64 v[10:11], 2, v[10:11]
	v_add_co_u32_e32 v10, vcc, v14, v10
	v_addc_co_u32_e32 v11, vcc, v15, v11, vcc
	global_load_dword v3, v[10:11], off
	s_waitcnt vmcnt(0)
	ds_write_b32 v12, v3 offset:5280
.LBB29_117:
	s_or_b64 exec, exec, s[0:1]
	v_add_u32_e32 v10, 16, v2
	v_ashrrev_i32_e32 v11, 31, v10
	v_cmp_gt_i64_e32 vcc, s[18:19], v[10:11]
	;; [unrolled: 18-line block ×3, first 2 shown]
	s_and_b64 exec, exec, vcc
	s_cbranch_execz .LBB29_121
; %bb.120:
	v_mul_lo_u32 v10, s11, v2
	v_mul_lo_u32 v11, s10, v3
	v_mad_u64_u32 v[2:3], s[0:1], s10, v2, 0
	v_add3_u32 v3, v3, v11, v10
	v_lshlrev_b64 v[2:3], 2, v[2:3]
	v_add_co_u32_e32 v2, vcc, v14, v2
	v_addc_co_u32_e32 v3, vcc, v15, v3, vcc
	global_load_dword v2, v[2:3], off
	s_waitcnt vmcnt(0)
	ds_write_b32 v12, v2 offset:7392
.LBB29_121:
	s_or_b64 exec, exec, s[8:9]
	s_lshl_b64 s[0:1], s[2:3], 2
	v_mov_b32_e32 v3, s1
	v_add_co_u32_e32 v2, vcc, s0, v16
	v_addc_co_u32_e32 v3, vcc, v17, v3, vcc
	s_waitcnt vmcnt(0) lgkmcnt(0)
	s_barrier
	s_and_saveexec_b64 s[0:1], s[4:5]
	s_cbranch_execnz .LBB29_146
; %bb.122:
	s_or_b64 exec, exec, s[0:1]
	s_and_saveexec_b64 s[0:1], s[6:7]
	s_cbranch_execnz .LBB29_147
.LBB29_123:
	s_or_b64 exec, exec, s[0:1]
	s_and_saveexec_b64 s[0:1], s[12:13]
	s_cbranch_execnz .LBB29_148
.LBB29_124:
	s_or_b64 exec, exec, s[0:1]
	s_and_saveexec_b64 s[0:1], s[14:15]
	s_cbranch_execz .LBB29_126
.LBB29_125:
	v_mul_lo_u32 v4, s19, v8
	v_mul_lo_u32 v5, s18, v9
	v_mad_u64_u32 v[0:1], s[0:1], s18, v8, 0
	ds_read_b32 v6, v13 offset:4320
	v_add3_u32 v1, v1, v5, v4
	v_lshlrev_b64 v[0:1], 2, v[0:1]
	v_add_co_u32_e32 v0, vcc, v2, v0
	v_addc_co_u32_e32 v1, vcc, v3, v1, vcc
	s_waitcnt lgkmcnt(0)
	global_store_dword v[0:1], v6, off
.LBB29_126:
	s_endpgm
.LBB29_127:
                                        ; implicit-def: $sgpr22_sgpr23
	s_branch .LBB29_2
.LBB29_128:
	v_mul_lo_u32 v11, s19, v4
	v_mul_lo_u32 v20, s18, v5
	v_mad_u64_u32 v[18:19], s[16:17], s18, v4, 0
	ds_read_b32 v21, v13 offset:4224
	v_add3_u32 v19, v19, v20, v11
	v_lshlrev_b64 v[18:19], 2, v[18:19]
	v_add_co_u32_e32 v18, vcc, v3, v18
	v_addc_co_u32_e32 v19, vcc, v10, v19, vcc
	s_waitcnt lgkmcnt(0)
	global_store_dword v[18:19], v21, off
	s_or_b64 exec, exec, s[2:3]
	s_and_saveexec_b64 s[2:3], s[6:7]
	s_cbranch_execz .LBB29_33
.LBB29_129:
	v_mul_lo_u32 v11, s19, v0
	v_mul_lo_u32 v20, s18, v1
	v_mad_u64_u32 v[18:19], s[16:17], s18, v0, 0
	ds_read_b32 v21, v13 offset:4256
	v_add3_u32 v19, v19, v20, v11
	v_lshlrev_b64 v[18:19], 2, v[18:19]
	v_add_co_u32_e32 v18, vcc, v3, v18
	v_addc_co_u32_e32 v19, vcc, v10, v19, vcc
	s_waitcnt lgkmcnt(0)
	global_store_dword v[18:19], v21, off
	s_or_b64 exec, exec, s[2:3]
	s_and_saveexec_b64 s[2:3], s[12:13]
	s_cbranch_execz .LBB29_34
.LBB29_130:
	v_mul_lo_u32 v11, s19, v6
	v_mul_lo_u32 v20, s18, v7
	v_mad_u64_u32 v[18:19], s[16:17], s18, v6, 0
	ds_read_b32 v21, v13 offset:4288
	v_add3_u32 v19, v19, v20, v11
	v_lshlrev_b64 v[18:19], 2, v[18:19]
	v_add_co_u32_e32 v18, vcc, v3, v18
	v_addc_co_u32_e32 v19, vcc, v10, v19, vcc
	s_waitcnt lgkmcnt(0)
	global_store_dword v[18:19], v21, off
	s_or_b64 exec, exec, s[2:3]
	s_and_saveexec_b64 s[2:3], s[14:15]
	s_cbranch_execnz .LBB29_35
	s_branch .LBB29_36
.LBB29_131:
	v_mul_lo_u32 v11, s19, v4
	v_mul_lo_u32 v20, s18, v5
	v_mad_u64_u32 v[18:19], s[16:17], s18, v4, 0
	ds_read_b32 v21, v13
	v_add3_u32 v19, v19, v20, v11
	v_lshlrev_b64 v[18:19], 2, v[18:19]
	v_add_co_u32_e32 v18, vcc, v3, v18
	v_addc_co_u32_e32 v19, vcc, v10, v19, vcc
	s_waitcnt lgkmcnt(0)
	global_store_dword v[18:19], v21, off
	s_or_b64 exec, exec, s[2:3]
	s_and_saveexec_b64 s[2:3], s[6:7]
	s_cbranch_execz .LBB29_48
.LBB29_132:
	v_mul_lo_u32 v11, s19, v0
	v_mul_lo_u32 v20, s18, v1
	v_mad_u64_u32 v[18:19], s[16:17], s18, v0, 0
	ds_read_b32 v21, v13 offset:32
	v_add3_u32 v19, v19, v20, v11
	v_lshlrev_b64 v[18:19], 2, v[18:19]
	v_add_co_u32_e32 v18, vcc, v3, v18
	v_addc_co_u32_e32 v19, vcc, v10, v19, vcc
	s_waitcnt lgkmcnt(0)
	global_store_dword v[18:19], v21, off
	s_or_b64 exec, exec, s[2:3]
	s_and_saveexec_b64 s[2:3], s[12:13]
	s_cbranch_execz .LBB29_49
.LBB29_133:
	v_mul_lo_u32 v11, s19, v6
	v_mul_lo_u32 v20, s18, v7
	v_mad_u64_u32 v[18:19], s[16:17], s18, v6, 0
	ds_read_b32 v21, v13 offset:64
	v_add3_u32 v19, v19, v20, v11
	v_lshlrev_b64 v[18:19], 2, v[18:19]
	v_add_co_u32_e32 v18, vcc, v3, v18
	v_addc_co_u32_e32 v19, vcc, v10, v19, vcc
	s_waitcnt lgkmcnt(0)
	global_store_dword v[18:19], v21, off
	s_or_b64 exec, exec, s[2:3]
	s_and_saveexec_b64 s[2:3], s[14:15]
	s_cbranch_execnz .LBB29_50
	s_branch .LBB29_51
.LBB29_134:
	v_mul_lo_u32 v11, s19, v4
	v_mul_lo_u32 v20, s18, v5
	v_mad_u64_u32 v[18:19], s[16:17], s18, v4, 0
	ds_read_b32 v21, v13 offset:4224
	v_add3_u32 v19, v19, v20, v11
	v_lshlrev_b64 v[18:19], 2, v[18:19]
	v_add_co_u32_e32 v18, vcc, v3, v18
	v_addc_co_u32_e32 v19, vcc, v10, v19, vcc
	s_waitcnt lgkmcnt(0)
	global_store_dword v[18:19], v21, off
	s_or_b64 exec, exec, s[2:3]
	s_and_saveexec_b64 s[2:3], s[6:7]
	s_cbranch_execz .LBB29_63
.LBB29_135:
	v_mul_lo_u32 v11, s19, v0
	v_mul_lo_u32 v20, s18, v1
	v_mad_u64_u32 v[18:19], s[16:17], s18, v0, 0
	ds_read_b32 v21, v13 offset:4256
	v_add3_u32 v19, v19, v20, v11
	v_lshlrev_b64 v[18:19], 2, v[18:19]
	v_add_co_u32_e32 v18, vcc, v3, v18
	v_addc_co_u32_e32 v19, vcc, v10, v19, vcc
	s_waitcnt lgkmcnt(0)
	global_store_dword v[18:19], v21, off
	s_or_b64 exec, exec, s[2:3]
	s_and_saveexec_b64 s[2:3], s[12:13]
	s_cbranch_execz .LBB29_64
.LBB29_136:
	v_mul_lo_u32 v11, s19, v6
	v_mul_lo_u32 v20, s18, v7
	v_mad_u64_u32 v[18:19], s[16:17], s18, v6, 0
	ds_read_b32 v21, v13 offset:4288
	v_add3_u32 v19, v19, v20, v11
	v_lshlrev_b64 v[18:19], 2, v[18:19]
	v_add_co_u32_e32 v18, vcc, v3, v18
	v_addc_co_u32_e32 v19, vcc, v10, v19, vcc
	s_waitcnt lgkmcnt(0)
	global_store_dword v[18:19], v21, off
	s_or_b64 exec, exec, s[2:3]
	s_and_saveexec_b64 s[2:3], s[14:15]
	s_cbranch_execnz .LBB29_65
	s_branch .LBB29_66
.LBB29_137:
	v_mul_lo_u32 v11, s19, v4
	v_mul_lo_u32 v20, s18, v5
	v_mad_u64_u32 v[18:19], s[16:17], s18, v4, 0
	ds_read_b32 v21, v13
	v_add3_u32 v19, v19, v20, v11
	v_lshlrev_b64 v[18:19], 2, v[18:19]
	v_add_co_u32_e32 v18, vcc, v3, v18
	v_addc_co_u32_e32 v19, vcc, v10, v19, vcc
	s_waitcnt lgkmcnt(0)
	global_store_dword v[18:19], v21, off
	s_or_b64 exec, exec, s[2:3]
	s_and_saveexec_b64 s[2:3], s[6:7]
	s_cbranch_execz .LBB29_78
.LBB29_138:
	v_mul_lo_u32 v11, s19, v0
	v_mul_lo_u32 v20, s18, v1
	v_mad_u64_u32 v[18:19], s[16:17], s18, v0, 0
	ds_read_b32 v21, v13 offset:32
	v_add3_u32 v19, v19, v20, v11
	v_lshlrev_b64 v[18:19], 2, v[18:19]
	v_add_co_u32_e32 v18, vcc, v3, v18
	v_addc_co_u32_e32 v19, vcc, v10, v19, vcc
	s_waitcnt lgkmcnt(0)
	global_store_dword v[18:19], v21, off
	s_or_b64 exec, exec, s[2:3]
	s_and_saveexec_b64 s[2:3], s[12:13]
	s_cbranch_execz .LBB29_79
.LBB29_139:
	v_mul_lo_u32 v11, s19, v6
	v_mul_lo_u32 v20, s18, v7
	v_mad_u64_u32 v[18:19], s[16:17], s18, v6, 0
	ds_read_b32 v21, v13 offset:64
	v_add3_u32 v19, v19, v20, v11
	v_lshlrev_b64 v[18:19], 2, v[18:19]
	v_add_co_u32_e32 v18, vcc, v3, v18
	v_addc_co_u32_e32 v19, vcc, v10, v19, vcc
	s_waitcnt lgkmcnt(0)
	global_store_dword v[18:19], v21, off
	s_or_b64 exec, exec, s[2:3]
	s_and_saveexec_b64 s[2:3], s[14:15]
	s_cbranch_execnz .LBB29_80
	s_branch .LBB29_81
.LBB29_140:
	v_mul_lo_u32 v11, s19, v4
	v_mul_lo_u32 v20, s18, v5
	v_mad_u64_u32 v[18:19], s[16:17], s18, v4, 0
	ds_read_b32 v21, v13 offset:4224
	v_add3_u32 v19, v19, v20, v11
	v_lshlrev_b64 v[18:19], 2, v[18:19]
	v_add_co_u32_e32 v18, vcc, v3, v18
	v_addc_co_u32_e32 v19, vcc, v10, v19, vcc
	s_waitcnt lgkmcnt(0)
	global_store_dword v[18:19], v21, off
	s_or_b64 exec, exec, s[2:3]
	s_and_saveexec_b64 s[2:3], s[6:7]
	s_cbranch_execz .LBB29_93
.LBB29_141:
	v_mul_lo_u32 v11, s19, v0
	v_mul_lo_u32 v20, s18, v1
	v_mad_u64_u32 v[18:19], s[16:17], s18, v0, 0
	ds_read_b32 v21, v13 offset:4256
	v_add3_u32 v19, v19, v20, v11
	v_lshlrev_b64 v[18:19], 2, v[18:19]
	v_add_co_u32_e32 v18, vcc, v3, v18
	v_addc_co_u32_e32 v19, vcc, v10, v19, vcc
	s_waitcnt lgkmcnt(0)
	global_store_dword v[18:19], v21, off
	s_or_b64 exec, exec, s[2:3]
	s_and_saveexec_b64 s[2:3], s[12:13]
	s_cbranch_execz .LBB29_94
.LBB29_142:
	v_mul_lo_u32 v11, s19, v6
	v_mul_lo_u32 v20, s18, v7
	v_mad_u64_u32 v[18:19], s[16:17], s18, v6, 0
	ds_read_b32 v21, v13 offset:4288
	v_add3_u32 v19, v19, v20, v11
	v_lshlrev_b64 v[18:19], 2, v[18:19]
	v_add_co_u32_e32 v18, vcc, v3, v18
	v_addc_co_u32_e32 v19, vcc, v10, v19, vcc
	s_waitcnt lgkmcnt(0)
	global_store_dword v[18:19], v21, off
	s_or_b64 exec, exec, s[2:3]
	s_and_saveexec_b64 s[2:3], s[14:15]
	s_cbranch_execnz .LBB29_95
	s_branch .LBB29_96
.LBB29_143:
	v_mul_lo_u32 v11, s19, v4
	v_mul_lo_u32 v20, s18, v5
	v_mad_u64_u32 v[18:19], s[16:17], s18, v4, 0
	ds_read_b32 v21, v13
	v_add3_u32 v19, v19, v20, v11
	v_lshlrev_b64 v[18:19], 2, v[18:19]
	v_add_co_u32_e32 v18, vcc, v3, v18
	v_addc_co_u32_e32 v19, vcc, v10, v19, vcc
	s_waitcnt lgkmcnt(0)
	global_store_dword v[18:19], v21, off
	s_or_b64 exec, exec, s[2:3]
	s_and_saveexec_b64 s[2:3], s[6:7]
	s_cbranch_execz .LBB29_108
.LBB29_144:
	v_mul_lo_u32 v11, s19, v0
	v_mul_lo_u32 v20, s18, v1
	v_mad_u64_u32 v[18:19], s[16:17], s18, v0, 0
	ds_read_b32 v21, v13 offset:32
	v_add3_u32 v19, v19, v20, v11
	v_lshlrev_b64 v[18:19], 2, v[18:19]
	v_add_co_u32_e32 v18, vcc, v3, v18
	v_addc_co_u32_e32 v19, vcc, v10, v19, vcc
	s_waitcnt lgkmcnt(0)
	global_store_dword v[18:19], v21, off
	s_or_b64 exec, exec, s[2:3]
	s_and_saveexec_b64 s[2:3], s[12:13]
	s_cbranch_execz .LBB29_109
.LBB29_145:
	v_mul_lo_u32 v11, s19, v6
	v_mul_lo_u32 v20, s18, v7
	v_mad_u64_u32 v[18:19], s[16:17], s18, v6, 0
	ds_read_b32 v21, v13 offset:64
	v_add3_u32 v19, v19, v20, v11
	v_lshlrev_b64 v[18:19], 2, v[18:19]
	v_add_co_u32_e32 v18, vcc, v3, v18
	v_addc_co_u32_e32 v19, vcc, v10, v19, vcc
	s_waitcnt lgkmcnt(0)
	global_store_dword v[18:19], v21, off
	s_or_b64 exec, exec, s[2:3]
	s_and_saveexec_b64 s[2:3], s[14:15]
	s_cbranch_execnz .LBB29_110
	s_branch .LBB29_111
.LBB29_146:
	v_mul_lo_u32 v10, s19, v4
	v_mul_lo_u32 v11, s18, v5
	v_mad_u64_u32 v[4:5], s[2:3], s18, v4, 0
	ds_read_b32 v12, v13 offset:4224
	v_add3_u32 v5, v5, v11, v10
	v_lshlrev_b64 v[4:5], 2, v[4:5]
	v_add_co_u32_e32 v4, vcc, v2, v4
	v_addc_co_u32_e32 v5, vcc, v3, v5, vcc
	s_waitcnt lgkmcnt(0)
	global_store_dword v[4:5], v12, off
	s_or_b64 exec, exec, s[0:1]
	s_and_saveexec_b64 s[0:1], s[6:7]
	s_cbranch_execz .LBB29_123
.LBB29_147:
	v_mul_lo_u32 v4, s19, v0
	v_mul_lo_u32 v5, s18, v1
	v_mad_u64_u32 v[0:1], s[2:3], s18, v0, 0
	ds_read_b32 v10, v13 offset:4256
	v_add3_u32 v1, v1, v5, v4
	v_lshlrev_b64 v[0:1], 2, v[0:1]
	v_add_co_u32_e32 v0, vcc, v2, v0
	v_addc_co_u32_e32 v1, vcc, v3, v1, vcc
	s_waitcnt lgkmcnt(0)
	global_store_dword v[0:1], v10, off
	s_or_b64 exec, exec, s[0:1]
	s_and_saveexec_b64 s[0:1], s[12:13]
	s_cbranch_execz .LBB29_124
.LBB29_148:
	v_mul_lo_u32 v4, s19, v6
	v_mul_lo_u32 v5, s18, v7
	v_mad_u64_u32 v[0:1], s[2:3], s18, v6, 0
	ds_read_b32 v6, v13 offset:4288
	v_add3_u32 v1, v1, v5, v4
	v_lshlrev_b64 v[0:1], 2, v[0:1]
	v_add_co_u32_e32 v0, vcc, v2, v0
	v_addc_co_u32_e32 v1, vcc, v3, v1, vcc
	s_waitcnt lgkmcnt(0)
	global_store_dword v[0:1], v6, off
	s_or_b64 exec, exec, s[0:1]
	s_and_saveexec_b64 s[0:1], s[14:15]
	s_cbranch_execnz .LBB29_125
	s_branch .LBB29_126
	.section	.rodata,"a",@progbits
	.p2align	6, 0x0
	.amdhsa_kernel _ZL20cpy_scalar_transposeIiEvPKcPclllllllllllllll
		.amdhsa_group_segment_fixed_size 8448
		.amdhsa_private_segment_fixed_size 0
		.amdhsa_kernarg_size 136
		.amdhsa_user_sgpr_count 6
		.amdhsa_user_sgpr_private_segment_buffer 1
		.amdhsa_user_sgpr_dispatch_ptr 0
		.amdhsa_user_sgpr_queue_ptr 0
		.amdhsa_user_sgpr_kernarg_segment_ptr 1
		.amdhsa_user_sgpr_dispatch_id 0
		.amdhsa_user_sgpr_flat_scratch_init 0
		.amdhsa_user_sgpr_private_segment_size 0
		.amdhsa_uses_dynamic_stack 0
		.amdhsa_system_sgpr_private_segment_wavefront_offset 0
		.amdhsa_system_sgpr_workgroup_id_x 1
		.amdhsa_system_sgpr_workgroup_id_y 1
		.amdhsa_system_sgpr_workgroup_id_z 1
		.amdhsa_system_sgpr_workgroup_info 0
		.amdhsa_system_vgpr_workitem_id 1
		.amdhsa_next_free_vgpr 29
		.amdhsa_next_free_sgpr 61
		.amdhsa_reserve_vcc 1
		.amdhsa_reserve_flat_scratch 0
		.amdhsa_float_round_mode_32 0
		.amdhsa_float_round_mode_16_64 0
		.amdhsa_float_denorm_mode_32 3
		.amdhsa_float_denorm_mode_16_64 3
		.amdhsa_dx10_clamp 1
		.amdhsa_ieee_mode 1
		.amdhsa_fp16_overflow 0
		.amdhsa_exception_fp_ieee_invalid_op 0
		.amdhsa_exception_fp_denorm_src 0
		.amdhsa_exception_fp_ieee_div_zero 0
		.amdhsa_exception_fp_ieee_overflow 0
		.amdhsa_exception_fp_ieee_underflow 0
		.amdhsa_exception_fp_ieee_inexact 0
		.amdhsa_exception_int_div_zero 0
	.end_amdhsa_kernel
	.section	.text._ZL20cpy_scalar_transposeIiEvPKcPclllllllllllllll,"axG",@progbits,_ZL20cpy_scalar_transposeIiEvPKcPclllllllllllllll,comdat
.Lfunc_end29:
	.size	_ZL20cpy_scalar_transposeIiEvPKcPclllllllllllllll, .Lfunc_end29-_ZL20cpy_scalar_transposeIiEvPKcPclllllllllllllll
                                        ; -- End function
	.set _ZL20cpy_scalar_transposeIiEvPKcPclllllllllllllll.num_vgpr, 22
	.set _ZL20cpy_scalar_transposeIiEvPKcPclllllllllllllll.num_agpr, 0
	.set _ZL20cpy_scalar_transposeIiEvPKcPclllllllllllllll.numbered_sgpr, 35
	.set _ZL20cpy_scalar_transposeIiEvPKcPclllllllllllllll.num_named_barrier, 0
	.set _ZL20cpy_scalar_transposeIiEvPKcPclllllllllllllll.private_seg_size, 0
	.set _ZL20cpy_scalar_transposeIiEvPKcPclllllllllllllll.uses_vcc, 1
	.set _ZL20cpy_scalar_transposeIiEvPKcPclllllllllllllll.uses_flat_scratch, 0
	.set _ZL20cpy_scalar_transposeIiEvPKcPclllllllllllllll.has_dyn_sized_stack, 0
	.set _ZL20cpy_scalar_transposeIiEvPKcPclllllllllllllll.has_recursion, 0
	.set _ZL20cpy_scalar_transposeIiEvPKcPclllllllllllllll.has_indirect_call, 0
	.section	.AMDGPU.csdata,"",@progbits
; Kernel info:
; codeLenInByte = 7436
; TotalNumSgprs: 39
; NumVgprs: 22
; ScratchSize: 0
; MemoryBound: 0
; FloatMode: 240
; IeeeMode: 1
; LDSByteSize: 8448 bytes/workgroup (compile time only)
; SGPRBlocks: 8
; VGPRBlocks: 7
; NumSGPRsForWavesPerEU: 65
; NumVGPRsForWavesPerEU: 29
; Occupancy: 8
; WaveLimiterHint : 0
; COMPUTE_PGM_RSRC2:SCRATCH_EN: 0
; COMPUTE_PGM_RSRC2:USER_SGPR: 6
; COMPUTE_PGM_RSRC2:TRAP_HANDLER: 0
; COMPUTE_PGM_RSRC2:TGID_X_EN: 1
; COMPUTE_PGM_RSRC2:TGID_Y_EN: 1
; COMPUTE_PGM_RSRC2:TGID_Z_EN: 1
; COMPUTE_PGM_RSRC2:TIDIG_COMP_CNT: 1
	.section	.text._ZL10cpy_scalarIXadL_ZL12cpy_1_scalarIiiEvPKcPcEEEvS2_S3_lllllllllllllll,"axG",@progbits,_ZL10cpy_scalarIXadL_ZL12cpy_1_scalarIiiEvPKcPcEEEvS2_S3_lllllllllllllll,comdat
	.globl	_ZL10cpy_scalarIXadL_ZL12cpy_1_scalarIiiEvPKcPcEEEvS2_S3_lllllllllllllll ; -- Begin function _ZL10cpy_scalarIXadL_ZL12cpy_1_scalarIiiEvPKcPcEEEvS2_S3_lllllllllllllll
	.p2align	8
	.type	_ZL10cpy_scalarIXadL_ZL12cpy_1_scalarIiiEvPKcPcEEEvS2_S3_lllllllllllllll,@function
_ZL10cpy_scalarIXadL_ZL12cpy_1_scalarIiiEvPKcPcEEEvS2_S3_lllllllllllllll: ; @_ZL10cpy_scalarIXadL_ZL12cpy_1_scalarIiiEvPKcPcEEEvS2_S3_lllllllllllllll
; %bb.0:
	s_load_dword s0, s[4:5], 0x94
	v_mov_b32_e32 v2, 0
	s_load_dwordx16 s[8:23], s[4:5], 0x0
	v_mov_b32_e32 v1, v2
	v_mov_b32_e32 v3, s6
	s_waitcnt lgkmcnt(0)
	s_and_b32 s0, s0, 0xffff
	v_mad_u64_u32 v[4:5], s[0:1], s0, v3, v[0:1]
	v_cmp_gt_i64_e32 vcc, s[12:13], v[4:5]
	s_and_saveexec_b64 s[0:1], vcc
	s_cbranch_execz .LBB30_26
; %bb.1:
	s_mul_i32 s0, s16, s15
	s_mul_hi_u32 s1, s16, s14
	s_add_i32 s0, s1, s0
	s_mul_i32 s1, s17, s14
	s_mul_i32 s16, s16, s14
	s_add_i32 s17, s0, s1
	s_mul_i32 s0, s16, s19
	s_mul_hi_u32 s1, s16, s18
	s_add_i32 s0, s1, s0
	s_mul_i32 s1, s17, s18
	s_add_i32 s19, s0, s1
	v_or_b32_e32 v3, s19, v5
	v_cmp_ne_u64_e32 vcc, 0, v[2:3]
	s_mul_i32 s18, s16, s18
	v_ashrrev_i32_e32 v10, 31, v5
                                        ; implicit-def: $vgpr0_vgpr1
	s_and_saveexec_b64 s[0:1], vcc
	s_xor_b64 s[2:3], exec, s[0:1]
	s_cbranch_execz .LBB30_3
; %bb.2:
	s_ashr_i32 s6, s19, 31
	s_add_u32 s0, s18, s6
	s_mov_b32 s7, s6
	s_addc_u32 s1, s19, s6
	s_xor_b64 s[12:13], s[0:1], s[6:7]
	v_cvt_f32_u32_e32 v0, s12
	v_cvt_f32_u32_e32 v1, s13
	s_sub_u32 s7, 0, s12
	s_subb_u32 s24, 0, s13
	v_madmk_f32 v0, v1, 0x4f800000, v0
	v_rcp_f32_e32 v0, v0
	v_mul_f32_e32 v0, 0x5f7ffffc, v0
	v_mul_f32_e32 v1, 0x2f800000, v0
	v_trunc_f32_e32 v1, v1
	v_madmk_f32 v0, v1, 0xcf800000, v0
	v_cvt_u32_f32_e32 v1, v1
	v_cvt_u32_f32_e32 v0, v0
	v_readfirstlane_b32 s25, v1
	v_readfirstlane_b32 s0, v0
	s_mul_i32 s1, s7, s25
	s_mul_hi_u32 s27, s7, s0
	s_mul_i32 s26, s24, s0
	s_add_i32 s1, s27, s1
	s_add_i32 s1, s1, s26
	s_mul_i32 s28, s7, s0
	s_mul_i32 s27, s0, s1
	s_mul_hi_u32 s29, s0, s28
	s_mul_hi_u32 s26, s0, s1
	s_add_u32 s27, s29, s27
	s_addc_u32 s26, 0, s26
	s_mul_hi_u32 s30, s25, s28
	s_mul_i32 s28, s25, s28
	s_add_u32 s27, s27, s28
	s_mul_hi_u32 s29, s25, s1
	s_addc_u32 s26, s26, s30
	s_addc_u32 s27, s29, 0
	s_mul_i32 s1, s25, s1
	s_add_u32 s1, s26, s1
	s_addc_u32 s26, 0, s27
	s_add_u32 s27, s0, s1
	s_cselect_b64 s[0:1], -1, 0
	s_cmp_lg_u64 s[0:1], 0
	s_addc_u32 s25, s25, s26
	s_mul_i32 s0, s7, s25
	s_mul_hi_u32 s1, s7, s27
	s_add_i32 s0, s1, s0
	s_mul_i32 s24, s24, s27
	s_add_i32 s0, s0, s24
	s_mul_i32 s7, s7, s27
	s_mul_hi_u32 s24, s25, s7
	s_mul_i32 s26, s25, s7
	s_mul_i32 s29, s27, s0
	s_mul_hi_u32 s7, s27, s7
	s_mul_hi_u32 s28, s27, s0
	s_add_u32 s7, s7, s29
	s_addc_u32 s28, 0, s28
	s_add_u32 s7, s7, s26
	s_mul_hi_u32 s1, s25, s0
	s_addc_u32 s7, s28, s24
	s_addc_u32 s1, s1, 0
	s_mul_i32 s0, s25, s0
	s_add_u32 s0, s7, s0
	s_addc_u32 s7, 0, s1
	s_add_u32 s24, s27, s0
	s_cselect_b64 s[0:1], -1, 0
	s_cmp_lg_u64 s[0:1], 0
	v_add_co_u32_e32 v0, vcc, v4, v10
	s_addc_u32 s7, s25, s7
	v_xor_b32_e32 v6, v0, v10
	v_mad_u64_u32 v[0:1], s[0:1], v6, s7, 0
	v_mul_hi_u32 v3, v6, s24
	v_addc_co_u32_e32 v2, vcc, v5, v10, vcc
	v_xor_b32_e32 v7, v2, v10
	v_add_co_u32_e32 v8, vcc, v3, v0
	v_addc_co_u32_e32 v9, vcc, 0, v1, vcc
	v_mad_u64_u32 v[0:1], s[0:1], v7, s24, 0
	v_mad_u64_u32 v[2:3], s[0:1], v7, s7, 0
	v_add_co_u32_e32 v0, vcc, v8, v0
	v_addc_co_u32_e32 v0, vcc, v9, v1, vcc
	v_addc_co_u32_e32 v1, vcc, 0, v3, vcc
	v_add_co_u32_e32 v2, vcc, v0, v2
	v_addc_co_u32_e32 v3, vcc, 0, v1, vcc
	v_mul_lo_u32 v8, s13, v2
	v_mul_lo_u32 v9, s12, v3
	v_mad_u64_u32 v[0:1], s[0:1], s12, v2, 0
	v_add3_u32 v1, v1, v9, v8
	v_sub_u32_e32 v8, v7, v1
	v_mov_b32_e32 v9, s13
	v_sub_co_u32_e32 v0, vcc, v6, v0
	v_subb_co_u32_e64 v6, s[0:1], v8, v9, vcc
	v_subrev_co_u32_e64 v8, s[0:1], s12, v0
	v_subbrev_co_u32_e64 v6, s[0:1], 0, v6, s[0:1]
	v_cmp_le_u32_e64 s[0:1], s13, v6
	v_cndmask_b32_e64 v9, 0, -1, s[0:1]
	v_cmp_le_u32_e64 s[0:1], s12, v8
	v_cndmask_b32_e64 v8, 0, -1, s[0:1]
	v_cmp_eq_u32_e64 s[0:1], s13, v6
	v_cndmask_b32_e64 v6, v9, v8, s[0:1]
	v_add_co_u32_e64 v8, s[0:1], 2, v2
	v_subb_co_u32_e32 v1, vcc, v7, v1, vcc
	v_addc_co_u32_e64 v9, s[0:1], 0, v3, s[0:1]
	v_cmp_le_u32_e32 vcc, s13, v1
	v_add_co_u32_e64 v11, s[0:1], 1, v2
	v_cndmask_b32_e64 v7, 0, -1, vcc
	v_cmp_le_u32_e32 vcc, s12, v0
	v_addc_co_u32_e64 v12, s[0:1], 0, v3, s[0:1]
	v_cndmask_b32_e64 v0, 0, -1, vcc
	v_cmp_eq_u32_e32 vcc, s13, v1
	v_cmp_ne_u32_e64 s[0:1], 0, v6
	v_cndmask_b32_e32 v0, v7, v0, vcc
	v_cndmask_b32_e64 v6, v12, v9, s[0:1]
	v_cmp_ne_u32_e32 vcc, 0, v0
	v_cndmask_b32_e64 v1, v11, v8, s[0:1]
	v_cndmask_b32_e32 v0, v3, v6, vcc
	v_cndmask_b32_e32 v1, v2, v1, vcc
	v_xor_b32_e32 v2, s6, v10
	v_xor_b32_e32 v3, v0, v2
	;; [unrolled: 1-line block ×3, first 2 shown]
	v_sub_co_u32_e32 v0, vcc, v0, v2
	v_subb_co_u32_e32 v1, vcc, v3, v2, vcc
.LBB30_3:
	s_andn2_saveexec_b64 s[0:1], s[2:3]
	s_cbranch_execz .LBB30_5
; %bb.4:
	v_cvt_f32_u32_e32 v0, s18
	s_sub_i32 s2, 0, s18
	v_rcp_iflag_f32_e32 v0, v0
	v_mul_f32_e32 v0, 0x4f7ffffe, v0
	v_cvt_u32_f32_e32 v0, v0
	v_mul_lo_u32 v1, s2, v0
	v_mul_hi_u32 v1, v0, v1
	v_add_u32_e32 v0, v0, v1
	v_mul_hi_u32 v0, v4, v0
	v_mul_lo_u32 v1, v0, s18
	v_add_u32_e32 v2, 1, v0
	v_sub_u32_e32 v1, v4, v1
	v_subrev_u32_e32 v3, s18, v1
	v_cmp_le_u32_e32 vcc, s18, v1
	v_cndmask_b32_e32 v1, v1, v3, vcc
	v_cndmask_b32_e32 v0, v0, v2, vcc
	v_add_u32_e32 v2, 1, v0
	v_cmp_le_u32_e32 vcc, s18, v1
	v_cndmask_b32_e32 v0, v0, v2, vcc
	v_mov_b32_e32 v1, 0
.LBB30_5:
	s_or_b64 exec, exec, s[0:1]
	v_mul_lo_u32 v6, s19, v0
	v_mul_lo_u32 v7, s18, v1
	v_mad_u64_u32 v[2:3], s[0:1], s18, v0, 0
	v_add3_u32 v3, v3, v7, v6
	v_sub_co_u32_e32 v6, vcc, v4, v2
	v_subb_co_u32_e32 v7, vcc, v5, v3, vcc
	v_or_b32_e32 v3, s17, v7
	v_mov_b32_e32 v2, 0
	v_cmp_ne_u64_e32 vcc, 0, v[2:3]
                                        ; implicit-def: $vgpr2_vgpr3
	s_and_saveexec_b64 s[0:1], vcc
	s_xor_b64 s[2:3], exec, s[0:1]
	s_cbranch_execz .LBB30_7
; %bb.6:
	s_ashr_i32 s6, s17, 31
	s_add_u32 s0, s16, s6
	s_mov_b32 s7, s6
	s_addc_u32 s1, s17, s6
	s_xor_b64 s[12:13], s[0:1], s[6:7]
	v_cvt_f32_u32_e32 v2, s12
	v_cvt_f32_u32_e32 v3, s13
	s_sub_u32 s7, 0, s12
	s_subb_u32 s18, 0, s13
	v_ashrrev_i32_e32 v11, 31, v7
	v_madmk_f32 v2, v3, 0x4f800000, v2
	v_rcp_f32_e32 v2, v2
	v_mul_f32_e32 v2, 0x5f7ffffc, v2
	v_mul_f32_e32 v3, 0x2f800000, v2
	v_trunc_f32_e32 v3, v3
	v_madmk_f32 v2, v3, 0xcf800000, v2
	v_cvt_u32_f32_e32 v3, v3
	v_cvt_u32_f32_e32 v2, v2
	v_readfirstlane_b32 s19, v3
	v_readfirstlane_b32 s0, v2
	s_mul_i32 s1, s7, s19
	s_mul_hi_u32 s25, s7, s0
	s_mul_i32 s24, s18, s0
	s_add_i32 s1, s25, s1
	s_add_i32 s1, s1, s24
	s_mul_i32 s26, s7, s0
	s_mul_i32 s25, s0, s1
	s_mul_hi_u32 s27, s0, s26
	s_mul_hi_u32 s24, s0, s1
	s_add_u32 s25, s27, s25
	s_addc_u32 s24, 0, s24
	s_mul_hi_u32 s28, s19, s26
	s_mul_i32 s26, s19, s26
	s_add_u32 s25, s25, s26
	s_mul_hi_u32 s27, s19, s1
	s_addc_u32 s24, s24, s28
	s_addc_u32 s25, s27, 0
	s_mul_i32 s1, s19, s1
	s_add_u32 s1, s24, s1
	s_addc_u32 s24, 0, s25
	s_add_u32 s25, s0, s1
	s_cselect_b64 s[0:1], -1, 0
	s_cmp_lg_u64 s[0:1], 0
	s_addc_u32 s19, s19, s24
	s_mul_i32 s0, s7, s19
	s_mul_hi_u32 s1, s7, s25
	s_add_i32 s0, s1, s0
	s_mul_i32 s18, s18, s25
	s_add_i32 s0, s0, s18
	s_mul_i32 s7, s7, s25
	s_mul_hi_u32 s18, s19, s7
	s_mul_i32 s24, s19, s7
	s_mul_i32 s27, s25, s0
	s_mul_hi_u32 s7, s25, s7
	s_mul_hi_u32 s26, s25, s0
	s_add_u32 s7, s7, s27
	s_addc_u32 s26, 0, s26
	s_add_u32 s7, s7, s24
	s_mul_hi_u32 s1, s19, s0
	s_addc_u32 s7, s26, s18
	s_addc_u32 s1, s1, 0
	s_mul_i32 s0, s19, s0
	s_add_u32 s0, s7, s0
	s_addc_u32 s7, 0, s1
	s_add_u32 s18, s25, s0
	s_cselect_b64 s[0:1], -1, 0
	s_cmp_lg_u64 s[0:1], 0
	v_add_co_u32_e32 v2, vcc, v6, v11
	s_addc_u32 s7, s19, s7
	v_xor_b32_e32 v12, v2, v11
	v_mad_u64_u32 v[2:3], s[0:1], v12, s7, 0
	v_mul_hi_u32 v9, v12, s18
	v_addc_co_u32_e32 v8, vcc, v7, v11, vcc
	v_xor_b32_e32 v13, v8, v11
	v_add_co_u32_e32 v14, vcc, v9, v2
	v_addc_co_u32_e32 v15, vcc, 0, v3, vcc
	v_mad_u64_u32 v[2:3], s[0:1], v13, s18, 0
	v_mad_u64_u32 v[8:9], s[0:1], v13, s7, 0
	v_add_co_u32_e32 v2, vcc, v14, v2
	v_addc_co_u32_e32 v2, vcc, v15, v3, vcc
	v_addc_co_u32_e32 v3, vcc, 0, v9, vcc
	v_add_co_u32_e32 v8, vcc, v2, v8
	v_addc_co_u32_e32 v9, vcc, 0, v3, vcc
	v_mul_lo_u32 v14, s13, v8
	v_mul_lo_u32 v15, s12, v9
	v_mad_u64_u32 v[2:3], s[0:1], s12, v8, 0
	v_add3_u32 v3, v3, v15, v14
	v_sub_u32_e32 v14, v13, v3
	v_mov_b32_e32 v15, s13
	v_sub_co_u32_e32 v2, vcc, v12, v2
	v_subb_co_u32_e64 v12, s[0:1], v14, v15, vcc
	v_subrev_co_u32_e64 v14, s[0:1], s12, v2
	v_subbrev_co_u32_e64 v12, s[0:1], 0, v12, s[0:1]
	v_cmp_le_u32_e64 s[0:1], s13, v12
	v_cndmask_b32_e64 v15, 0, -1, s[0:1]
	v_cmp_le_u32_e64 s[0:1], s12, v14
	v_cndmask_b32_e64 v14, 0, -1, s[0:1]
	v_cmp_eq_u32_e64 s[0:1], s13, v12
	v_cndmask_b32_e64 v12, v15, v14, s[0:1]
	v_add_co_u32_e64 v14, s[0:1], 2, v8
	v_subb_co_u32_e32 v3, vcc, v13, v3, vcc
	v_addc_co_u32_e64 v15, s[0:1], 0, v9, s[0:1]
	v_cmp_le_u32_e32 vcc, s13, v3
	v_add_co_u32_e64 v16, s[0:1], 1, v8
	v_cndmask_b32_e64 v13, 0, -1, vcc
	v_cmp_le_u32_e32 vcc, s12, v2
	v_addc_co_u32_e64 v17, s[0:1], 0, v9, s[0:1]
	v_cndmask_b32_e64 v2, 0, -1, vcc
	v_cmp_eq_u32_e32 vcc, s13, v3
	v_cmp_ne_u32_e64 s[0:1], 0, v12
	v_cndmask_b32_e32 v2, v13, v2, vcc
	v_cndmask_b32_e64 v12, v17, v15, s[0:1]
	v_cmp_ne_u32_e32 vcc, 0, v2
	v_cndmask_b32_e64 v3, v16, v14, s[0:1]
	v_cndmask_b32_e32 v2, v9, v12, vcc
	v_cndmask_b32_e32 v3, v8, v3, vcc
	v_xor_b32_e32 v8, s6, v11
	v_xor_b32_e32 v9, v2, v8
	;; [unrolled: 1-line block ×3, first 2 shown]
	v_sub_co_u32_e32 v2, vcc, v2, v8
	v_subb_co_u32_e32 v3, vcc, v9, v8, vcc
.LBB30_7:
	s_andn2_saveexec_b64 s[0:1], s[2:3]
	s_cbranch_execz .LBB30_9
; %bb.8:
	v_cvt_f32_u32_e32 v2, s16
	s_sub_i32 s2, 0, s16
	v_rcp_iflag_f32_e32 v2, v2
	v_mul_f32_e32 v2, 0x4f7ffffe, v2
	v_cvt_u32_f32_e32 v2, v2
	v_mul_lo_u32 v3, s2, v2
	v_mul_hi_u32 v3, v2, v3
	v_add_u32_e32 v2, v2, v3
	v_mul_hi_u32 v2, v6, v2
	v_mul_lo_u32 v3, v2, s16
	v_add_u32_e32 v8, 1, v2
	v_sub_u32_e32 v3, v6, v3
	v_subrev_u32_e32 v9, s16, v3
	v_cmp_le_u32_e32 vcc, s16, v3
	v_cndmask_b32_e32 v3, v3, v9, vcc
	v_cndmask_b32_e32 v2, v2, v8, vcc
	v_add_u32_e32 v8, 1, v2
	v_cmp_le_u32_e32 vcc, s16, v3
	v_cndmask_b32_e32 v2, v2, v8, vcc
	v_mov_b32_e32 v3, 0
.LBB30_9:
	s_or_b64 exec, exec, s[0:1]
	v_mul_lo_u32 v11, s17, v2
	v_mul_lo_u32 v12, s16, v3
	v_mad_u64_u32 v[8:9], s[0:1], s16, v2, 0
	v_add3_u32 v9, v9, v12, v11
	v_sub_co_u32_e32 v12, vcc, v6, v8
	v_subb_co_u32_e32 v13, vcc, v7, v9, vcc
	v_or_b32_e32 v7, s15, v13
	v_mov_b32_e32 v6, 0
	v_cmp_ne_u64_e32 vcc, 0, v[6:7]
                                        ; implicit-def: $vgpr6_vgpr7
	s_and_saveexec_b64 s[0:1], vcc
	s_xor_b64 s[2:3], exec, s[0:1]
	s_cbranch_execz .LBB30_11
; %bb.10:
	s_ashr_i32 s6, s15, 31
	s_add_u32 s0, s14, s6
	s_mov_b32 s7, s6
	s_addc_u32 s1, s15, s6
	s_xor_b64 s[12:13], s[0:1], s[6:7]
	v_cvt_f32_u32_e32 v6, s12
	v_cvt_f32_u32_e32 v7, s13
	s_sub_u32 s7, 0, s12
	s_subb_u32 s16, 0, s13
	v_ashrrev_i32_e32 v11, 31, v13
	v_madmk_f32 v6, v7, 0x4f800000, v6
	v_rcp_f32_e32 v6, v6
	v_mul_f32_e32 v6, 0x5f7ffffc, v6
	v_mul_f32_e32 v7, 0x2f800000, v6
	v_trunc_f32_e32 v7, v7
	v_madmk_f32 v6, v7, 0xcf800000, v6
	v_cvt_u32_f32_e32 v7, v7
	v_cvt_u32_f32_e32 v6, v6
	v_readfirstlane_b32 s17, v7
	v_readfirstlane_b32 s0, v6
	s_mul_i32 s1, s7, s17
	s_mul_hi_u32 s19, s7, s0
	s_mul_i32 s18, s16, s0
	s_add_i32 s1, s19, s1
	s_add_i32 s1, s1, s18
	s_mul_i32 s24, s7, s0
	s_mul_i32 s19, s0, s1
	s_mul_hi_u32 s25, s0, s24
	s_mul_hi_u32 s18, s0, s1
	s_add_u32 s19, s25, s19
	s_addc_u32 s18, 0, s18
	s_mul_hi_u32 s26, s17, s24
	s_mul_i32 s24, s17, s24
	s_add_u32 s19, s19, s24
	s_mul_hi_u32 s25, s17, s1
	s_addc_u32 s18, s18, s26
	s_addc_u32 s19, s25, 0
	s_mul_i32 s1, s17, s1
	s_add_u32 s1, s18, s1
	s_addc_u32 s18, 0, s19
	s_add_u32 s19, s0, s1
	s_cselect_b64 s[0:1], -1, 0
	s_cmp_lg_u64 s[0:1], 0
	s_addc_u32 s17, s17, s18
	s_mul_i32 s0, s7, s17
	s_mul_hi_u32 s1, s7, s19
	s_add_i32 s0, s1, s0
	s_mul_i32 s16, s16, s19
	s_add_i32 s0, s0, s16
	s_mul_i32 s7, s7, s19
	s_mul_hi_u32 s16, s17, s7
	s_mul_i32 s18, s17, s7
	s_mul_i32 s25, s19, s0
	s_mul_hi_u32 s7, s19, s7
	s_mul_hi_u32 s24, s19, s0
	s_add_u32 s7, s7, s25
	s_addc_u32 s24, 0, s24
	s_add_u32 s7, s7, s18
	s_mul_hi_u32 s1, s17, s0
	s_addc_u32 s7, s24, s16
	s_addc_u32 s1, s1, 0
	s_mul_i32 s0, s17, s0
	s_add_u32 s0, s7, s0
	s_addc_u32 s7, 0, s1
	s_add_u32 s16, s19, s0
	s_cselect_b64 s[0:1], -1, 0
	s_cmp_lg_u64 s[0:1], 0
	v_add_co_u32_e32 v6, vcc, v12, v11
	s_addc_u32 s7, s17, s7
	v_xor_b32_e32 v14, v6, v11
	v_mad_u64_u32 v[6:7], s[0:1], v14, s7, 0
	v_mul_hi_u32 v9, v14, s16
	v_addc_co_u32_e32 v8, vcc, v13, v11, vcc
	v_xor_b32_e32 v15, v8, v11
	v_add_co_u32_e32 v16, vcc, v9, v6
	v_addc_co_u32_e32 v17, vcc, 0, v7, vcc
	v_mad_u64_u32 v[6:7], s[0:1], v15, s16, 0
	v_mad_u64_u32 v[8:9], s[0:1], v15, s7, 0
	v_add_co_u32_e32 v6, vcc, v16, v6
	v_addc_co_u32_e32 v6, vcc, v17, v7, vcc
	v_addc_co_u32_e32 v7, vcc, 0, v9, vcc
	v_add_co_u32_e32 v8, vcc, v6, v8
	v_addc_co_u32_e32 v9, vcc, 0, v7, vcc
	v_mul_lo_u32 v16, s13, v8
	v_mul_lo_u32 v17, s12, v9
	v_mad_u64_u32 v[6:7], s[0:1], s12, v8, 0
	v_add3_u32 v7, v7, v17, v16
	v_sub_u32_e32 v16, v15, v7
	v_mov_b32_e32 v17, s13
	v_sub_co_u32_e32 v6, vcc, v14, v6
	v_subb_co_u32_e64 v14, s[0:1], v16, v17, vcc
	v_subrev_co_u32_e64 v16, s[0:1], s12, v6
	v_subbrev_co_u32_e64 v14, s[0:1], 0, v14, s[0:1]
	v_cmp_le_u32_e64 s[0:1], s13, v14
	v_cndmask_b32_e64 v17, 0, -1, s[0:1]
	v_cmp_le_u32_e64 s[0:1], s12, v16
	v_cndmask_b32_e64 v16, 0, -1, s[0:1]
	v_cmp_eq_u32_e64 s[0:1], s13, v14
	v_cndmask_b32_e64 v14, v17, v16, s[0:1]
	v_add_co_u32_e64 v16, s[0:1], 2, v8
	v_subb_co_u32_e32 v7, vcc, v15, v7, vcc
	v_addc_co_u32_e64 v17, s[0:1], 0, v9, s[0:1]
	v_cmp_le_u32_e32 vcc, s13, v7
	v_add_co_u32_e64 v18, s[0:1], 1, v8
	v_cndmask_b32_e64 v15, 0, -1, vcc
	v_cmp_le_u32_e32 vcc, s12, v6
	v_addc_co_u32_e64 v19, s[0:1], 0, v9, s[0:1]
	v_cndmask_b32_e64 v6, 0, -1, vcc
	v_cmp_eq_u32_e32 vcc, s13, v7
	v_cmp_ne_u32_e64 s[0:1], 0, v14
	v_cndmask_b32_e32 v6, v15, v6, vcc
	v_cndmask_b32_e64 v14, v19, v17, s[0:1]
	v_cmp_ne_u32_e32 vcc, 0, v6
	v_cndmask_b32_e64 v7, v18, v16, s[0:1]
	v_cndmask_b32_e32 v6, v9, v14, vcc
	v_cndmask_b32_e32 v7, v8, v7, vcc
	v_xor_b32_e32 v8, s6, v11
	v_xor_b32_e32 v9, v6, v8
	;; [unrolled: 1-line block ×3, first 2 shown]
	v_sub_co_u32_e32 v6, vcc, v6, v8
	v_subb_co_u32_e32 v7, vcc, v9, v8, vcc
.LBB30_11:
	s_andn2_saveexec_b64 s[0:1], s[2:3]
	s_cbranch_execz .LBB30_13
; %bb.12:
	v_cvt_f32_u32_e32 v6, s14
	s_sub_i32 s2, 0, s14
	v_rcp_iflag_f32_e32 v6, v6
	v_mul_f32_e32 v6, 0x4f7ffffe, v6
	v_cvt_u32_f32_e32 v6, v6
	v_mul_lo_u32 v7, s2, v6
	v_mul_hi_u32 v7, v6, v7
	v_add_u32_e32 v6, v6, v7
	v_mul_hi_u32 v6, v12, v6
	v_mul_lo_u32 v7, v6, s14
	v_add_u32_e32 v8, 1, v6
	v_sub_u32_e32 v7, v12, v7
	v_subrev_u32_e32 v9, s14, v7
	v_cmp_le_u32_e32 vcc, s14, v7
	v_cndmask_b32_e32 v7, v7, v9, vcc
	v_cndmask_b32_e32 v6, v6, v8, vcc
	v_add_u32_e32 v8, 1, v6
	v_cmp_le_u32_e32 vcc, s14, v7
	v_cndmask_b32_e32 v6, v6, v8, vcc
	v_mov_b32_e32 v7, 0
.LBB30_13:
	s_or_b64 exec, exec, s[0:1]
	s_load_dwordx16 s[36:51], s[4:5], 0x40
	v_mov_b32_e32 v8, 0
	s_waitcnt lgkmcnt(0)
	s_mul_i32 s0, s42, s41
	s_mul_hi_u32 s1, s42, s40
	s_mul_i32 s2, s43, s40
	s_mul_i32 s16, s42, s40
	s_add_i32 s17, s1, s0
	s_mul_i32 s0, s16, s45
	s_add_i32 s17, s17, s2
	s_mul_hi_u32 s1, s16, s44
	s_add_i32 s0, s1, s0
	s_mul_i32 s1, s17, s44
	s_add_i32 s18, s0, s1
	v_or_b32_e32 v9, s18, v5
	v_cmp_ne_u64_e32 vcc, 0, v[8:9]
	s_mul_i32 s19, s16, s44
                                        ; implicit-def: $vgpr8_vgpr9
	s_and_saveexec_b64 s[0:1], vcc
	s_xor_b64 s[2:3], exec, s[0:1]
	s_cbranch_execz .LBB30_15
; %bb.14:
	s_ashr_i32 s6, s18, 31
	s_add_u32 s0, s19, s6
	s_mov_b32 s7, s6
	s_addc_u32 s1, s18, s6
	s_xor_b64 s[12:13], s[0:1], s[6:7]
	v_cvt_f32_u32_e32 v8, s12
	v_cvt_f32_u32_e32 v9, s13
	s_sub_u32 s7, 0, s12
	s_subb_u32 s24, 0, s13
	v_madmk_f32 v8, v9, 0x4f800000, v8
	v_rcp_f32_e32 v8, v8
	v_mul_f32_e32 v8, 0x5f7ffffc, v8
	v_mul_f32_e32 v9, 0x2f800000, v8
	v_trunc_f32_e32 v9, v9
	v_madmk_f32 v8, v9, 0xcf800000, v8
	v_cvt_u32_f32_e32 v9, v9
	v_cvt_u32_f32_e32 v8, v8
	v_readfirstlane_b32 s25, v9
	v_readfirstlane_b32 s0, v8
	s_mul_i32 s1, s7, s25
	s_mul_hi_u32 s27, s7, s0
	s_mul_i32 s26, s24, s0
	s_add_i32 s1, s27, s1
	s_add_i32 s1, s1, s26
	s_mul_i32 s28, s7, s0
	s_mul_i32 s27, s0, s1
	s_mul_hi_u32 s29, s0, s28
	s_mul_hi_u32 s26, s0, s1
	s_add_u32 s27, s29, s27
	s_addc_u32 s26, 0, s26
	s_mul_hi_u32 s30, s25, s28
	s_mul_i32 s28, s25, s28
	s_add_u32 s27, s27, s28
	s_mul_hi_u32 s29, s25, s1
	s_addc_u32 s26, s26, s30
	s_addc_u32 s27, s29, 0
	s_mul_i32 s1, s25, s1
	s_add_u32 s1, s26, s1
	s_addc_u32 s26, 0, s27
	s_add_u32 s27, s0, s1
	s_cselect_b64 s[0:1], -1, 0
	s_cmp_lg_u64 s[0:1], 0
	s_addc_u32 s25, s25, s26
	s_mul_i32 s0, s7, s25
	s_mul_hi_u32 s1, s7, s27
	s_add_i32 s0, s1, s0
	s_mul_i32 s24, s24, s27
	s_add_i32 s0, s0, s24
	s_mul_i32 s7, s7, s27
	s_mul_hi_u32 s24, s25, s7
	s_mul_i32 s26, s25, s7
	s_mul_i32 s29, s27, s0
	s_mul_hi_u32 s7, s27, s7
	s_mul_hi_u32 s28, s27, s0
	s_add_u32 s7, s7, s29
	s_addc_u32 s28, 0, s28
	s_add_u32 s7, s7, s26
	s_mul_hi_u32 s1, s25, s0
	s_addc_u32 s7, s28, s24
	s_addc_u32 s1, s1, 0
	s_mul_i32 s0, s25, s0
	s_add_u32 s0, s7, s0
	s_addc_u32 s7, 0, s1
	s_add_u32 s24, s27, s0
	s_cselect_b64 s[0:1], -1, 0
	s_cmp_lg_u64 s[0:1], 0
	v_add_co_u32_e32 v8, vcc, v4, v10
	s_addc_u32 s7, s25, s7
	v_xor_b32_e32 v16, v8, v10
	v_mad_u64_u32 v[8:9], s[0:1], v16, s7, 0
	v_mul_hi_u32 v14, v16, s24
	v_addc_co_u32_e32 v11, vcc, v5, v10, vcc
	v_xor_b32_e32 v11, v11, v10
	v_add_co_u32_e32 v17, vcc, v14, v8
	v_addc_co_u32_e32 v18, vcc, 0, v9, vcc
	v_mad_u64_u32 v[8:9], s[0:1], v11, s24, 0
	v_mad_u64_u32 v[14:15], s[0:1], v11, s7, 0
	v_add_co_u32_e32 v8, vcc, v17, v8
	v_addc_co_u32_e32 v8, vcc, v18, v9, vcc
	v_addc_co_u32_e32 v9, vcc, 0, v15, vcc
	v_add_co_u32_e32 v14, vcc, v8, v14
	v_addc_co_u32_e32 v15, vcc, 0, v9, vcc
	v_mul_lo_u32 v17, s13, v14
	v_mul_lo_u32 v18, s12, v15
	v_mad_u64_u32 v[8:9], s[0:1], s12, v14, 0
	v_xor_b32_e32 v10, s6, v10
	v_add3_u32 v9, v9, v18, v17
	v_sub_u32_e32 v17, v11, v9
	v_mov_b32_e32 v18, s13
	v_sub_co_u32_e32 v8, vcc, v16, v8
	v_subb_co_u32_e64 v16, s[0:1], v17, v18, vcc
	v_subrev_co_u32_e64 v17, s[0:1], s12, v8
	v_subbrev_co_u32_e64 v16, s[0:1], 0, v16, s[0:1]
	v_cmp_le_u32_e64 s[0:1], s13, v16
	v_cndmask_b32_e64 v18, 0, -1, s[0:1]
	v_cmp_le_u32_e64 s[0:1], s12, v17
	v_cndmask_b32_e64 v17, 0, -1, s[0:1]
	v_cmp_eq_u32_e64 s[0:1], s13, v16
	v_cndmask_b32_e64 v16, v18, v17, s[0:1]
	v_add_co_u32_e64 v17, s[0:1], 2, v14
	v_subb_co_u32_e32 v9, vcc, v11, v9, vcc
	v_addc_co_u32_e64 v18, s[0:1], 0, v15, s[0:1]
	v_cmp_le_u32_e32 vcc, s13, v9
	v_add_co_u32_e64 v19, s[0:1], 1, v14
	v_cndmask_b32_e64 v11, 0, -1, vcc
	v_cmp_le_u32_e32 vcc, s12, v8
	v_addc_co_u32_e64 v20, s[0:1], 0, v15, s[0:1]
	v_cndmask_b32_e64 v8, 0, -1, vcc
	v_cmp_eq_u32_e32 vcc, s13, v9
	v_cmp_ne_u32_e64 s[0:1], 0, v16
	v_cndmask_b32_e32 v8, v11, v8, vcc
	v_cndmask_b32_e64 v16, v20, v18, s[0:1]
	v_cmp_ne_u32_e32 vcc, 0, v8
	v_cndmask_b32_e64 v9, v19, v17, s[0:1]
	v_cndmask_b32_e32 v8, v15, v16, vcc
	v_cndmask_b32_e32 v9, v14, v9, vcc
	v_xor_b32_e32 v11, v8, v10
	v_xor_b32_e32 v8, v9, v10
	v_sub_co_u32_e32 v8, vcc, v8, v10
	v_subb_co_u32_e32 v9, vcc, v11, v10, vcc
.LBB30_15:
	s_andn2_saveexec_b64 s[0:1], s[2:3]
	s_cbranch_execz .LBB30_17
; %bb.16:
	v_cvt_f32_u32_e32 v8, s19
	s_sub_i32 s2, 0, s19
	v_rcp_iflag_f32_e32 v8, v8
	v_mul_f32_e32 v8, 0x4f7ffffe, v8
	v_cvt_u32_f32_e32 v8, v8
	v_mul_lo_u32 v9, s2, v8
	v_mul_hi_u32 v9, v8, v9
	v_add_u32_e32 v8, v8, v9
	v_mul_hi_u32 v8, v4, v8
	v_mul_lo_u32 v9, v8, s19
	v_add_u32_e32 v10, 1, v8
	v_sub_u32_e32 v9, v4, v9
	v_subrev_u32_e32 v11, s19, v9
	v_cmp_le_u32_e32 vcc, s19, v9
	v_cndmask_b32_e32 v9, v9, v11, vcc
	v_cndmask_b32_e32 v8, v8, v10, vcc
	v_add_u32_e32 v10, 1, v8
	v_cmp_le_u32_e32 vcc, s19, v9
	v_cndmask_b32_e32 v8, v8, v10, vcc
	v_mov_b32_e32 v9, 0
.LBB30_17:
	s_or_b64 exec, exec, s[0:1]
	v_mul_lo_u32 v14, s18, v8
	v_mul_lo_u32 v15, s19, v9
	v_mad_u64_u32 v[10:11], s[0:1], s19, v8, 0
	v_add3_u32 v11, v11, v15, v14
	v_sub_co_u32_e32 v10, vcc, v4, v10
	v_subb_co_u32_e32 v11, vcc, v5, v11, vcc
	v_or_b32_e32 v5, s17, v11
	v_mov_b32_e32 v4, 0
	v_cmp_ne_u64_e32 vcc, 0, v[4:5]
                                        ; implicit-def: $vgpr4_vgpr5
	s_and_saveexec_b64 s[0:1], vcc
	s_xor_b64 s[2:3], exec, s[0:1]
	s_cbranch_execz .LBB30_19
; %bb.18:
	s_ashr_i32 s6, s17, 31
	s_add_u32 s0, s16, s6
	s_mov_b32 s7, s6
	s_addc_u32 s1, s17, s6
	s_xor_b64 s[12:13], s[0:1], s[6:7]
	v_cvt_f32_u32_e32 v4, s12
	v_cvt_f32_u32_e32 v5, s13
	s_sub_u32 s7, 0, s12
	s_subb_u32 s18, 0, s13
	v_ashrrev_i32_e32 v16, 31, v11
	v_madmk_f32 v4, v5, 0x4f800000, v4
	v_rcp_f32_e32 v4, v4
	v_mul_f32_e32 v4, 0x5f7ffffc, v4
	v_mul_f32_e32 v5, 0x2f800000, v4
	v_trunc_f32_e32 v5, v5
	v_madmk_f32 v4, v5, 0xcf800000, v4
	v_cvt_u32_f32_e32 v5, v5
	v_cvt_u32_f32_e32 v4, v4
	v_readfirstlane_b32 s19, v5
	v_readfirstlane_b32 s0, v4
	s_mul_i32 s1, s7, s19
	s_mul_hi_u32 s25, s7, s0
	s_mul_i32 s24, s18, s0
	s_add_i32 s1, s25, s1
	s_add_i32 s1, s1, s24
	s_mul_i32 s26, s7, s0
	s_mul_i32 s25, s0, s1
	s_mul_hi_u32 s27, s0, s26
	s_mul_hi_u32 s24, s0, s1
	s_add_u32 s25, s27, s25
	s_addc_u32 s24, 0, s24
	s_mul_hi_u32 s28, s19, s26
	s_mul_i32 s26, s19, s26
	s_add_u32 s25, s25, s26
	s_mul_hi_u32 s27, s19, s1
	s_addc_u32 s24, s24, s28
	s_addc_u32 s25, s27, 0
	s_mul_i32 s1, s19, s1
	s_add_u32 s1, s24, s1
	s_addc_u32 s24, 0, s25
	s_add_u32 s25, s0, s1
	s_cselect_b64 s[0:1], -1, 0
	s_cmp_lg_u64 s[0:1], 0
	s_addc_u32 s19, s19, s24
	s_mul_i32 s0, s7, s19
	s_mul_hi_u32 s1, s7, s25
	s_add_i32 s0, s1, s0
	s_mul_i32 s18, s18, s25
	s_add_i32 s0, s0, s18
	s_mul_i32 s7, s7, s25
	s_mul_hi_u32 s18, s19, s7
	s_mul_i32 s24, s19, s7
	s_mul_i32 s27, s25, s0
	s_mul_hi_u32 s7, s25, s7
	s_mul_hi_u32 s26, s25, s0
	s_add_u32 s7, s7, s27
	s_addc_u32 s26, 0, s26
	s_add_u32 s7, s7, s24
	s_mul_hi_u32 s1, s19, s0
	s_addc_u32 s7, s26, s18
	s_addc_u32 s1, s1, 0
	s_mul_i32 s0, s19, s0
	s_add_u32 s0, s7, s0
	s_addc_u32 s7, 0, s1
	s_add_u32 s18, s25, s0
	s_cselect_b64 s[0:1], -1, 0
	s_cmp_lg_u64 s[0:1], 0
	v_add_co_u32_e32 v4, vcc, v10, v16
	s_addc_u32 s7, s19, s7
	v_xor_b32_e32 v17, v4, v16
	v_mad_u64_u32 v[4:5], s[0:1], v17, s7, 0
	v_mul_hi_u32 v15, v17, s18
	v_addc_co_u32_e32 v14, vcc, v11, v16, vcc
	v_xor_b32_e32 v18, v14, v16
	v_add_co_u32_e32 v19, vcc, v15, v4
	v_addc_co_u32_e32 v20, vcc, 0, v5, vcc
	v_mad_u64_u32 v[4:5], s[0:1], v18, s18, 0
	v_mad_u64_u32 v[14:15], s[0:1], v18, s7, 0
	v_add_co_u32_e32 v4, vcc, v19, v4
	v_addc_co_u32_e32 v4, vcc, v20, v5, vcc
	v_addc_co_u32_e32 v5, vcc, 0, v15, vcc
	v_add_co_u32_e32 v14, vcc, v4, v14
	v_addc_co_u32_e32 v15, vcc, 0, v5, vcc
	v_mul_lo_u32 v19, s13, v14
	v_mul_lo_u32 v20, s12, v15
	v_mad_u64_u32 v[4:5], s[0:1], s12, v14, 0
	v_add3_u32 v5, v5, v20, v19
	v_sub_u32_e32 v19, v18, v5
	v_mov_b32_e32 v20, s13
	v_sub_co_u32_e32 v4, vcc, v17, v4
	v_subb_co_u32_e64 v17, s[0:1], v19, v20, vcc
	v_subrev_co_u32_e64 v19, s[0:1], s12, v4
	v_subbrev_co_u32_e64 v17, s[0:1], 0, v17, s[0:1]
	v_cmp_le_u32_e64 s[0:1], s13, v17
	v_cndmask_b32_e64 v20, 0, -1, s[0:1]
	v_cmp_le_u32_e64 s[0:1], s12, v19
	v_cndmask_b32_e64 v19, 0, -1, s[0:1]
	v_cmp_eq_u32_e64 s[0:1], s13, v17
	v_cndmask_b32_e64 v17, v20, v19, s[0:1]
	v_add_co_u32_e64 v19, s[0:1], 2, v14
	v_subb_co_u32_e32 v5, vcc, v18, v5, vcc
	v_addc_co_u32_e64 v20, s[0:1], 0, v15, s[0:1]
	v_cmp_le_u32_e32 vcc, s13, v5
	v_add_co_u32_e64 v21, s[0:1], 1, v14
	v_cndmask_b32_e64 v18, 0, -1, vcc
	v_cmp_le_u32_e32 vcc, s12, v4
	v_addc_co_u32_e64 v22, s[0:1], 0, v15, s[0:1]
	v_cndmask_b32_e64 v4, 0, -1, vcc
	v_cmp_eq_u32_e32 vcc, s13, v5
	v_cmp_ne_u32_e64 s[0:1], 0, v17
	v_cndmask_b32_e32 v4, v18, v4, vcc
	v_cndmask_b32_e64 v17, v22, v20, s[0:1]
	v_cmp_ne_u32_e32 vcc, 0, v4
	v_cndmask_b32_e64 v5, v21, v19, s[0:1]
	v_cndmask_b32_e32 v4, v15, v17, vcc
	v_cndmask_b32_e32 v5, v14, v5, vcc
	v_xor_b32_e32 v14, s6, v16
	v_xor_b32_e32 v15, v4, v14
	;; [unrolled: 1-line block ×3, first 2 shown]
	v_sub_co_u32_e32 v4, vcc, v4, v14
	v_subb_co_u32_e32 v5, vcc, v15, v14, vcc
.LBB30_19:
	s_andn2_saveexec_b64 s[0:1], s[2:3]
	s_cbranch_execz .LBB30_21
; %bb.20:
	v_cvt_f32_u32_e32 v4, s16
	s_sub_i32 s2, 0, s16
	v_rcp_iflag_f32_e32 v4, v4
	v_mul_f32_e32 v4, 0x4f7ffffe, v4
	v_cvt_u32_f32_e32 v4, v4
	v_mul_lo_u32 v5, s2, v4
	v_mul_hi_u32 v5, v4, v5
	v_add_u32_e32 v4, v4, v5
	v_mul_hi_u32 v4, v10, v4
	v_mul_lo_u32 v5, v4, s16
	v_add_u32_e32 v14, 1, v4
	v_sub_u32_e32 v5, v10, v5
	v_subrev_u32_e32 v15, s16, v5
	v_cmp_le_u32_e32 vcc, s16, v5
	v_cndmask_b32_e32 v5, v5, v15, vcc
	v_cndmask_b32_e32 v4, v4, v14, vcc
	v_add_u32_e32 v14, 1, v4
	v_cmp_le_u32_e32 vcc, s16, v5
	v_cndmask_b32_e32 v4, v4, v14, vcc
	v_mov_b32_e32 v5, 0
.LBB30_21:
	s_or_b64 exec, exec, s[0:1]
	v_mul_lo_u32 v16, s17, v4
	v_mul_lo_u32 v17, s16, v5
	v_mad_u64_u32 v[14:15], s[0:1], s16, v4, 0
	v_add3_u32 v15, v15, v17, v16
	v_sub_co_u32_e32 v14, vcc, v10, v14
	v_subb_co_u32_e32 v15, vcc, v11, v15, vcc
	v_or_b32_e32 v11, s41, v15
	v_mov_b32_e32 v10, 0
	v_cmp_ne_u64_e32 vcc, 0, v[10:11]
                                        ; implicit-def: $vgpr10_vgpr11
	s_and_saveexec_b64 s[0:1], vcc
	s_xor_b64 s[2:3], exec, s[0:1]
	s_cbranch_execz .LBB30_23
; %bb.22:
	s_ashr_i32 s6, s41, 31
	s_add_u32 s0, s40, s6
	s_mov_b32 s7, s6
	s_addc_u32 s1, s41, s6
	s_xor_b64 s[12:13], s[0:1], s[6:7]
	v_cvt_f32_u32_e32 v10, s12
	v_cvt_f32_u32_e32 v11, s13
	s_sub_u32 s7, 0, s12
	s_subb_u32 s16, 0, s13
	v_ashrrev_i32_e32 v18, 31, v15
	v_madmk_f32 v10, v11, 0x4f800000, v10
	v_rcp_f32_e32 v10, v10
	v_mul_f32_e32 v10, 0x5f7ffffc, v10
	v_mul_f32_e32 v11, 0x2f800000, v10
	v_trunc_f32_e32 v11, v11
	v_madmk_f32 v10, v11, 0xcf800000, v10
	v_cvt_u32_f32_e32 v11, v11
	v_cvt_u32_f32_e32 v10, v10
	v_readfirstlane_b32 s17, v11
	v_readfirstlane_b32 s0, v10
	s_mul_i32 s1, s7, s17
	s_mul_hi_u32 s19, s7, s0
	s_mul_i32 s18, s16, s0
	s_add_i32 s1, s19, s1
	s_add_i32 s1, s1, s18
	s_mul_i32 s24, s7, s0
	s_mul_i32 s19, s0, s1
	s_mul_hi_u32 s25, s0, s24
	s_mul_hi_u32 s18, s0, s1
	s_add_u32 s19, s25, s19
	s_addc_u32 s18, 0, s18
	s_mul_hi_u32 s26, s17, s24
	s_mul_i32 s24, s17, s24
	s_add_u32 s19, s19, s24
	s_mul_hi_u32 s25, s17, s1
	s_addc_u32 s18, s18, s26
	s_addc_u32 s19, s25, 0
	s_mul_i32 s1, s17, s1
	s_add_u32 s1, s18, s1
	s_addc_u32 s18, 0, s19
	s_add_u32 s19, s0, s1
	s_cselect_b64 s[0:1], -1, 0
	s_cmp_lg_u64 s[0:1], 0
	s_addc_u32 s17, s17, s18
	s_mul_i32 s0, s7, s17
	s_mul_hi_u32 s1, s7, s19
	s_add_i32 s0, s1, s0
	s_mul_i32 s16, s16, s19
	s_add_i32 s0, s0, s16
	s_mul_i32 s7, s7, s19
	s_mul_hi_u32 s16, s17, s7
	s_mul_i32 s18, s17, s7
	s_mul_i32 s25, s19, s0
	s_mul_hi_u32 s7, s19, s7
	s_mul_hi_u32 s24, s19, s0
	s_add_u32 s7, s7, s25
	s_addc_u32 s24, 0, s24
	s_add_u32 s7, s7, s18
	s_mul_hi_u32 s1, s17, s0
	s_addc_u32 s7, s24, s16
	s_addc_u32 s1, s1, 0
	s_mul_i32 s0, s17, s0
	s_add_u32 s0, s7, s0
	s_addc_u32 s7, 0, s1
	s_add_u32 s16, s19, s0
	s_cselect_b64 s[0:1], -1, 0
	s_cmp_lg_u64 s[0:1], 0
	v_add_co_u32_e32 v10, vcc, v14, v18
	s_addc_u32 s7, s17, s7
	v_xor_b32_e32 v19, v10, v18
	v_mad_u64_u32 v[10:11], s[0:1], v19, s7, 0
	v_mul_hi_u32 v17, v19, s16
	v_addc_co_u32_e32 v16, vcc, v15, v18, vcc
	v_xor_b32_e32 v20, v16, v18
	v_add_co_u32_e32 v21, vcc, v17, v10
	v_addc_co_u32_e32 v22, vcc, 0, v11, vcc
	v_mad_u64_u32 v[10:11], s[0:1], v20, s16, 0
	v_mad_u64_u32 v[16:17], s[0:1], v20, s7, 0
	v_add_co_u32_e32 v10, vcc, v21, v10
	v_addc_co_u32_e32 v10, vcc, v22, v11, vcc
	v_addc_co_u32_e32 v11, vcc, 0, v17, vcc
	v_add_co_u32_e32 v16, vcc, v10, v16
	v_addc_co_u32_e32 v17, vcc, 0, v11, vcc
	v_mul_lo_u32 v21, s13, v16
	v_mul_lo_u32 v22, s12, v17
	v_mad_u64_u32 v[10:11], s[0:1], s12, v16, 0
	v_add3_u32 v11, v11, v22, v21
	v_sub_u32_e32 v21, v20, v11
	v_mov_b32_e32 v22, s13
	v_sub_co_u32_e32 v10, vcc, v19, v10
	v_subb_co_u32_e64 v19, s[0:1], v21, v22, vcc
	v_subrev_co_u32_e64 v21, s[0:1], s12, v10
	v_subbrev_co_u32_e64 v19, s[0:1], 0, v19, s[0:1]
	v_cmp_le_u32_e64 s[0:1], s13, v19
	v_cndmask_b32_e64 v22, 0, -1, s[0:1]
	v_cmp_le_u32_e64 s[0:1], s12, v21
	v_cndmask_b32_e64 v21, 0, -1, s[0:1]
	v_cmp_eq_u32_e64 s[0:1], s13, v19
	v_cndmask_b32_e64 v19, v22, v21, s[0:1]
	v_add_co_u32_e64 v21, s[0:1], 2, v16
	v_subb_co_u32_e32 v11, vcc, v20, v11, vcc
	v_addc_co_u32_e64 v22, s[0:1], 0, v17, s[0:1]
	v_cmp_le_u32_e32 vcc, s13, v11
	v_add_co_u32_e64 v23, s[0:1], 1, v16
	v_cndmask_b32_e64 v20, 0, -1, vcc
	v_cmp_le_u32_e32 vcc, s12, v10
	v_addc_co_u32_e64 v24, s[0:1], 0, v17, s[0:1]
	v_cndmask_b32_e64 v10, 0, -1, vcc
	v_cmp_eq_u32_e32 vcc, s13, v11
	v_cmp_ne_u32_e64 s[0:1], 0, v19
	v_cndmask_b32_e32 v10, v20, v10, vcc
	v_cndmask_b32_e64 v19, v24, v22, s[0:1]
	v_cmp_ne_u32_e32 vcc, 0, v10
	v_cndmask_b32_e64 v11, v23, v21, s[0:1]
	v_cndmask_b32_e32 v10, v17, v19, vcc
	v_cndmask_b32_e32 v11, v16, v11, vcc
	v_xor_b32_e32 v16, s6, v18
	v_xor_b32_e32 v17, v10, v16
	;; [unrolled: 1-line block ×3, first 2 shown]
	v_sub_co_u32_e32 v10, vcc, v10, v16
	v_subb_co_u32_e32 v11, vcc, v17, v16, vcc
.LBB30_23:
	s_andn2_saveexec_b64 s[0:1], s[2:3]
	s_cbranch_execz .LBB30_25
; %bb.24:
	v_cvt_f32_u32_e32 v10, s40
	s_sub_i32 s2, 0, s40
	v_rcp_iflag_f32_e32 v10, v10
	v_mul_f32_e32 v10, 0x4f7ffffe, v10
	v_cvt_u32_f32_e32 v10, v10
	v_mul_lo_u32 v11, s2, v10
	v_mul_hi_u32 v11, v10, v11
	v_add_u32_e32 v10, v10, v11
	v_mul_hi_u32 v10, v14, v10
	v_mul_lo_u32 v11, v10, s40
	v_add_u32_e32 v16, 1, v10
	v_sub_u32_e32 v11, v14, v11
	v_subrev_u32_e32 v17, s40, v11
	v_cmp_le_u32_e32 vcc, s40, v11
	v_cndmask_b32_e32 v11, v11, v17, vcc
	v_cndmask_b32_e32 v10, v10, v16, vcc
	v_add_u32_e32 v16, 1, v10
	v_cmp_le_u32_e32 vcc, s40, v11
	v_cndmask_b32_e32 v10, v10, v16, vcc
	v_mov_b32_e32 v11, 0
.LBB30_25:
	s_or_b64 exec, exec, s[0:1]
	v_mul_lo_u32 v18, v7, s14
	v_mul_lo_u32 v19, v6, s15
	v_mad_u64_u32 v[16:17], s[0:1], v6, s14, 0
	v_mul_lo_u32 v7, v7, s22
	v_mul_lo_u32 v3, v3, s36
	v_add3_u32 v17, v17, v19, v18
	v_sub_co_u32_e32 v16, vcc, v12, v16
	v_subb_co_u32_e32 v17, vcc, v13, v17, vcc
	v_mov_b32_e32 v12, s8
	v_mov_b32_e32 v13, s9
	v_mul_lo_u32 v18, v16, s21
	v_mul_lo_u32 v17, v17, s20
	v_mad_u64_u32 v[12:13], s[0:1], v16, s20, v[12:13]
	v_mul_lo_u32 v1, v1, s38
	v_add3_u32 v13, v17, v13, v18
	v_mad_u64_u32 v[12:13], s[0:1], v6, s22, v[12:13]
	v_mul_lo_u32 v6, v6, s23
	v_add3_u32 v13, v7, v13, v6
	v_mad_u64_u32 v[6:7], s[0:1], v2, s36, v[12:13]
	v_mul_lo_u32 v2, v2, s37
	v_mul_lo_u32 v12, v10, s41
	v_add3_u32 v7, v3, v7, v2
	v_mad_u64_u32 v[2:3], s[0:1], v0, s38, v[6:7]
	v_mul_lo_u32 v0, v0, s39
	v_mul_lo_u32 v7, v11, s40
	v_add3_u32 v3, v1, v3, v0
	global_load_dword v6, v[2:3], off
	v_mad_u64_u32 v[0:1], s[0:1], v10, s40, 0
	v_mov_b32_e32 v2, s10
	v_mov_b32_e32 v3, s11
	v_add3_u32 v1, v1, v12, v7
	v_sub_co_u32_e32 v0, vcc, v14, v0
	v_subb_co_u32_e32 v1, vcc, v15, v1, vcc
	v_mul_lo_u32 v7, v0, s47
	v_mul_lo_u32 v12, v1, s46
	v_mad_u64_u32 v[0:1], s[0:1], v0, s46, v[2:3]
	v_mul_lo_u32 v2, v10, s49
	v_mul_lo_u32 v3, v11, s48
	v_add3_u32 v1, v12, v1, v7
	v_mad_u64_u32 v[0:1], s[0:1], v10, s48, v[0:1]
	v_add3_u32 v1, v3, v1, v2
	v_mad_u64_u32 v[0:1], s[0:1], v4, s50, v[0:1]
	v_mul_lo_u32 v2, v4, s51
	v_mul_lo_u32 v3, v5, s50
	s_load_dwordx2 s[0:1], s[4:5], 0x80
	v_add3_u32 v1, v3, v1, v2
	s_waitcnt lgkmcnt(0)
	v_mad_u64_u32 v[0:1], s[2:3], v8, s0, v[0:1]
	v_mul_lo_u32 v2, v8, s1
	v_mul_lo_u32 v3, v9, s0
	v_add3_u32 v1, v3, v1, v2
	s_waitcnt vmcnt(0)
	global_store_dword v[0:1], v6, off
.LBB30_26:
	s_endpgm
	.section	.rodata,"a",@progbits
	.p2align	6, 0x0
	.amdhsa_kernel _ZL10cpy_scalarIXadL_ZL12cpy_1_scalarIiiEvPKcPcEEEvS2_S3_lllllllllllllll
		.amdhsa_group_segment_fixed_size 0
		.amdhsa_private_segment_fixed_size 0
		.amdhsa_kernarg_size 392
		.amdhsa_user_sgpr_count 6
		.amdhsa_user_sgpr_private_segment_buffer 1
		.amdhsa_user_sgpr_dispatch_ptr 0
		.amdhsa_user_sgpr_queue_ptr 0
		.amdhsa_user_sgpr_kernarg_segment_ptr 1
		.amdhsa_user_sgpr_dispatch_id 0
		.amdhsa_user_sgpr_flat_scratch_init 0
		.amdhsa_user_sgpr_private_segment_size 0
		.amdhsa_uses_dynamic_stack 0
		.amdhsa_system_sgpr_private_segment_wavefront_offset 0
		.amdhsa_system_sgpr_workgroup_id_x 1
		.amdhsa_system_sgpr_workgroup_id_y 0
		.amdhsa_system_sgpr_workgroup_id_z 0
		.amdhsa_system_sgpr_workgroup_info 0
		.amdhsa_system_vgpr_workitem_id 0
		.amdhsa_next_free_vgpr 25
		.amdhsa_next_free_sgpr 52
		.amdhsa_reserve_vcc 1
		.amdhsa_reserve_flat_scratch 0
		.amdhsa_float_round_mode_32 0
		.amdhsa_float_round_mode_16_64 0
		.amdhsa_float_denorm_mode_32 3
		.amdhsa_float_denorm_mode_16_64 3
		.amdhsa_dx10_clamp 1
		.amdhsa_ieee_mode 1
		.amdhsa_fp16_overflow 0
		.amdhsa_exception_fp_ieee_invalid_op 0
		.amdhsa_exception_fp_denorm_src 0
		.amdhsa_exception_fp_ieee_div_zero 0
		.amdhsa_exception_fp_ieee_overflow 0
		.amdhsa_exception_fp_ieee_underflow 0
		.amdhsa_exception_fp_ieee_inexact 0
		.amdhsa_exception_int_div_zero 0
	.end_amdhsa_kernel
	.section	.text._ZL10cpy_scalarIXadL_ZL12cpy_1_scalarIiiEvPKcPcEEEvS2_S3_lllllllllllllll,"axG",@progbits,_ZL10cpy_scalarIXadL_ZL12cpy_1_scalarIiiEvPKcPcEEEvS2_S3_lllllllllllllll,comdat
.Lfunc_end30:
	.size	_ZL10cpy_scalarIXadL_ZL12cpy_1_scalarIiiEvPKcPcEEEvS2_S3_lllllllllllllll, .Lfunc_end30-_ZL10cpy_scalarIXadL_ZL12cpy_1_scalarIiiEvPKcPcEEEvS2_S3_lllllllllllllll
                                        ; -- End function
	.set _ZL10cpy_scalarIXadL_ZL12cpy_1_scalarIiiEvPKcPcEEEvS2_S3_lllllllllllllll.num_vgpr, 25
	.set _ZL10cpy_scalarIXadL_ZL12cpy_1_scalarIiiEvPKcPcEEEvS2_S3_lllllllllllllll.num_agpr, 0
	.set _ZL10cpy_scalarIXadL_ZL12cpy_1_scalarIiiEvPKcPcEEEvS2_S3_lllllllllllllll.numbered_sgpr, 52
	.set _ZL10cpy_scalarIXadL_ZL12cpy_1_scalarIiiEvPKcPcEEEvS2_S3_lllllllllllllll.num_named_barrier, 0
	.set _ZL10cpy_scalarIXadL_ZL12cpy_1_scalarIiiEvPKcPcEEEvS2_S3_lllllllllllllll.private_seg_size, 0
	.set _ZL10cpy_scalarIXadL_ZL12cpy_1_scalarIiiEvPKcPcEEEvS2_S3_lllllllllllllll.uses_vcc, 1
	.set _ZL10cpy_scalarIXadL_ZL12cpy_1_scalarIiiEvPKcPcEEEvS2_S3_lllllllllllllll.uses_flat_scratch, 0
	.set _ZL10cpy_scalarIXadL_ZL12cpy_1_scalarIiiEvPKcPcEEEvS2_S3_lllllllllllllll.has_dyn_sized_stack, 0
	.set _ZL10cpy_scalarIXadL_ZL12cpy_1_scalarIiiEvPKcPcEEEvS2_S3_lllllllllllllll.has_recursion, 0
	.set _ZL10cpy_scalarIXadL_ZL12cpy_1_scalarIiiEvPKcPcEEEvS2_S3_lllllllllllllll.has_indirect_call, 0
	.section	.AMDGPU.csdata,"",@progbits
; Kernel info:
; codeLenInByte = 5196
; TotalNumSgprs: 56
; NumVgprs: 25
; ScratchSize: 0
; MemoryBound: 0
; FloatMode: 240
; IeeeMode: 1
; LDSByteSize: 0 bytes/workgroup (compile time only)
; SGPRBlocks: 6
; VGPRBlocks: 6
; NumSGPRsForWavesPerEU: 56
; NumVGPRsForWavesPerEU: 25
; Occupancy: 9
; WaveLimiterHint : 0
; COMPUTE_PGM_RSRC2:SCRATCH_EN: 0
; COMPUTE_PGM_RSRC2:USER_SGPR: 6
; COMPUTE_PGM_RSRC2:TRAP_HANDLER: 0
; COMPUTE_PGM_RSRC2:TGID_X_EN: 1
; COMPUTE_PGM_RSRC2:TGID_Y_EN: 0
; COMPUTE_PGM_RSRC2:TGID_Z_EN: 0
; COMPUTE_PGM_RSRC2:TIDIG_COMP_CNT: 0
	.section	.text._ZL21cpy_scalar_contiguousIfiEvPKcPcl,"axG",@progbits,_ZL21cpy_scalar_contiguousIfiEvPKcPcl,comdat
	.globl	_ZL21cpy_scalar_contiguousIfiEvPKcPcl ; -- Begin function _ZL21cpy_scalar_contiguousIfiEvPKcPcl
	.p2align	8
	.type	_ZL21cpy_scalar_contiguousIfiEvPKcPcl,@function
_ZL21cpy_scalar_contiguousIfiEvPKcPcl:  ; @_ZL21cpy_scalar_contiguousIfiEvPKcPcl
; %bb.0:
	s_load_dword s2, s[4:5], 0x24
	s_load_dwordx2 s[0:1], s[4:5], 0x10
	v_mov_b32_e32 v1, 0
	v_mov_b32_e32 v2, s6
	s_waitcnt lgkmcnt(0)
	s_and_b32 s2, s2, 0xffff
	v_mad_u64_u32 v[0:1], s[2:3], s2, v2, v[0:1]
	v_cmp_gt_i64_e32 vcc, s[0:1], v[0:1]
	s_and_saveexec_b64 s[0:1], vcc
	s_cbranch_execz .LBB31_2
; %bb.1:
	s_load_dwordx4 s[0:3], s[4:5], 0x0
	v_lshlrev_b64 v[0:1], 2, v[0:1]
	s_waitcnt lgkmcnt(0)
	v_mov_b32_e32 v3, s1
	v_add_co_u32_e32 v2, vcc, s0, v0
	v_addc_co_u32_e32 v3, vcc, v3, v1, vcc
	global_load_dword v2, v[2:3], off
	v_mov_b32_e32 v3, s3
	v_add_co_u32_e32 v0, vcc, s2, v0
	v_addc_co_u32_e32 v1, vcc, v3, v1, vcc
	s_waitcnt vmcnt(0)
	v_cvt_i32_f32_e32 v2, v2
	global_store_dword v[0:1], v2, off
.LBB31_2:
	s_endpgm
	.section	.rodata,"a",@progbits
	.p2align	6, 0x0
	.amdhsa_kernel _ZL21cpy_scalar_contiguousIfiEvPKcPcl
		.amdhsa_group_segment_fixed_size 0
		.amdhsa_private_segment_fixed_size 0
		.amdhsa_kernarg_size 280
		.amdhsa_user_sgpr_count 6
		.amdhsa_user_sgpr_private_segment_buffer 1
		.amdhsa_user_sgpr_dispatch_ptr 0
		.amdhsa_user_sgpr_queue_ptr 0
		.amdhsa_user_sgpr_kernarg_segment_ptr 1
		.amdhsa_user_sgpr_dispatch_id 0
		.amdhsa_user_sgpr_flat_scratch_init 0
		.amdhsa_user_sgpr_private_segment_size 0
		.amdhsa_uses_dynamic_stack 0
		.amdhsa_system_sgpr_private_segment_wavefront_offset 0
		.amdhsa_system_sgpr_workgroup_id_x 1
		.amdhsa_system_sgpr_workgroup_id_y 0
		.amdhsa_system_sgpr_workgroup_id_z 0
		.amdhsa_system_sgpr_workgroup_info 0
		.amdhsa_system_vgpr_workitem_id 0
		.amdhsa_next_free_vgpr 4
		.amdhsa_next_free_sgpr 7
		.amdhsa_reserve_vcc 1
		.amdhsa_reserve_flat_scratch 0
		.amdhsa_float_round_mode_32 0
		.amdhsa_float_round_mode_16_64 0
		.amdhsa_float_denorm_mode_32 3
		.amdhsa_float_denorm_mode_16_64 3
		.amdhsa_dx10_clamp 1
		.amdhsa_ieee_mode 1
		.amdhsa_fp16_overflow 0
		.amdhsa_exception_fp_ieee_invalid_op 0
		.amdhsa_exception_fp_denorm_src 0
		.amdhsa_exception_fp_ieee_div_zero 0
		.amdhsa_exception_fp_ieee_overflow 0
		.amdhsa_exception_fp_ieee_underflow 0
		.amdhsa_exception_fp_ieee_inexact 0
		.amdhsa_exception_int_div_zero 0
	.end_amdhsa_kernel
	.section	.text._ZL21cpy_scalar_contiguousIfiEvPKcPcl,"axG",@progbits,_ZL21cpy_scalar_contiguousIfiEvPKcPcl,comdat
.Lfunc_end31:
	.size	_ZL21cpy_scalar_contiguousIfiEvPKcPcl, .Lfunc_end31-_ZL21cpy_scalar_contiguousIfiEvPKcPcl
                                        ; -- End function
	.set _ZL21cpy_scalar_contiguousIfiEvPKcPcl.num_vgpr, 4
	.set _ZL21cpy_scalar_contiguousIfiEvPKcPcl.num_agpr, 0
	.set _ZL21cpy_scalar_contiguousIfiEvPKcPcl.numbered_sgpr, 7
	.set _ZL21cpy_scalar_contiguousIfiEvPKcPcl.num_named_barrier, 0
	.set _ZL21cpy_scalar_contiguousIfiEvPKcPcl.private_seg_size, 0
	.set _ZL21cpy_scalar_contiguousIfiEvPKcPcl.uses_vcc, 1
	.set _ZL21cpy_scalar_contiguousIfiEvPKcPcl.uses_flat_scratch, 0
	.set _ZL21cpy_scalar_contiguousIfiEvPKcPcl.has_dyn_sized_stack, 0
	.set _ZL21cpy_scalar_contiguousIfiEvPKcPcl.has_recursion, 0
	.set _ZL21cpy_scalar_contiguousIfiEvPKcPcl.has_indirect_call, 0
	.section	.AMDGPU.csdata,"",@progbits
; Kernel info:
; codeLenInByte = 128
; TotalNumSgprs: 11
; NumVgprs: 4
; ScratchSize: 0
; MemoryBound: 0
; FloatMode: 240
; IeeeMode: 1
; LDSByteSize: 0 bytes/workgroup (compile time only)
; SGPRBlocks: 1
; VGPRBlocks: 0
; NumSGPRsForWavesPerEU: 11
; NumVGPRsForWavesPerEU: 4
; Occupancy: 10
; WaveLimiterHint : 0
; COMPUTE_PGM_RSRC2:SCRATCH_EN: 0
; COMPUTE_PGM_RSRC2:USER_SGPR: 6
; COMPUTE_PGM_RSRC2:TRAP_HANDLER: 0
; COMPUTE_PGM_RSRC2:TGID_X_EN: 1
; COMPUTE_PGM_RSRC2:TGID_Y_EN: 0
; COMPUTE_PGM_RSRC2:TGID_Z_EN: 0
; COMPUTE_PGM_RSRC2:TIDIG_COMP_CNT: 0
	.section	.text._ZL10cpy_scalarIXadL_ZL12cpy_1_scalarIfiEvPKcPcEEEvS2_S3_lllllllllllllll,"axG",@progbits,_ZL10cpy_scalarIXadL_ZL12cpy_1_scalarIfiEvPKcPcEEEvS2_S3_lllllllllllllll,comdat
	.globl	_ZL10cpy_scalarIXadL_ZL12cpy_1_scalarIfiEvPKcPcEEEvS2_S3_lllllllllllllll ; -- Begin function _ZL10cpy_scalarIXadL_ZL12cpy_1_scalarIfiEvPKcPcEEEvS2_S3_lllllllllllllll
	.p2align	8
	.type	_ZL10cpy_scalarIXadL_ZL12cpy_1_scalarIfiEvPKcPcEEEvS2_S3_lllllllllllllll,@function
_ZL10cpy_scalarIXadL_ZL12cpy_1_scalarIfiEvPKcPcEEEvS2_S3_lllllllllllllll: ; @_ZL10cpy_scalarIXadL_ZL12cpy_1_scalarIfiEvPKcPcEEEvS2_S3_lllllllllllllll
; %bb.0:
	s_load_dword s0, s[4:5], 0x94
	v_mov_b32_e32 v2, 0
	s_load_dwordx16 s[8:23], s[4:5], 0x0
	v_mov_b32_e32 v1, v2
	v_mov_b32_e32 v3, s6
	s_waitcnt lgkmcnt(0)
	s_and_b32 s0, s0, 0xffff
	v_mad_u64_u32 v[4:5], s[0:1], s0, v3, v[0:1]
	v_cmp_gt_i64_e32 vcc, s[12:13], v[4:5]
	s_and_saveexec_b64 s[0:1], vcc
	s_cbranch_execz .LBB32_26
; %bb.1:
	s_mul_i32 s0, s16, s15
	s_mul_hi_u32 s1, s16, s14
	s_add_i32 s0, s1, s0
	s_mul_i32 s1, s17, s14
	s_mul_i32 s16, s16, s14
	s_add_i32 s17, s0, s1
	s_mul_i32 s0, s16, s19
	s_mul_hi_u32 s1, s16, s18
	s_add_i32 s0, s1, s0
	s_mul_i32 s1, s17, s18
	s_add_i32 s19, s0, s1
	v_or_b32_e32 v3, s19, v5
	v_cmp_ne_u64_e32 vcc, 0, v[2:3]
	s_mul_i32 s18, s16, s18
	v_ashrrev_i32_e32 v10, 31, v5
                                        ; implicit-def: $vgpr0_vgpr1
	s_and_saveexec_b64 s[0:1], vcc
	s_xor_b64 s[2:3], exec, s[0:1]
	s_cbranch_execz .LBB32_3
; %bb.2:
	s_ashr_i32 s6, s19, 31
	s_add_u32 s0, s18, s6
	s_mov_b32 s7, s6
	s_addc_u32 s1, s19, s6
	s_xor_b64 s[12:13], s[0:1], s[6:7]
	v_cvt_f32_u32_e32 v0, s12
	v_cvt_f32_u32_e32 v1, s13
	s_sub_u32 s7, 0, s12
	s_subb_u32 s24, 0, s13
	v_madmk_f32 v0, v1, 0x4f800000, v0
	v_rcp_f32_e32 v0, v0
	v_mul_f32_e32 v0, 0x5f7ffffc, v0
	v_mul_f32_e32 v1, 0x2f800000, v0
	v_trunc_f32_e32 v1, v1
	v_madmk_f32 v0, v1, 0xcf800000, v0
	v_cvt_u32_f32_e32 v1, v1
	v_cvt_u32_f32_e32 v0, v0
	v_readfirstlane_b32 s25, v1
	v_readfirstlane_b32 s0, v0
	s_mul_i32 s1, s7, s25
	s_mul_hi_u32 s27, s7, s0
	s_mul_i32 s26, s24, s0
	s_add_i32 s1, s27, s1
	s_add_i32 s1, s1, s26
	s_mul_i32 s28, s7, s0
	s_mul_i32 s27, s0, s1
	s_mul_hi_u32 s29, s0, s28
	s_mul_hi_u32 s26, s0, s1
	s_add_u32 s27, s29, s27
	s_addc_u32 s26, 0, s26
	s_mul_hi_u32 s30, s25, s28
	s_mul_i32 s28, s25, s28
	s_add_u32 s27, s27, s28
	s_mul_hi_u32 s29, s25, s1
	s_addc_u32 s26, s26, s30
	s_addc_u32 s27, s29, 0
	s_mul_i32 s1, s25, s1
	s_add_u32 s1, s26, s1
	s_addc_u32 s26, 0, s27
	s_add_u32 s27, s0, s1
	s_cselect_b64 s[0:1], -1, 0
	s_cmp_lg_u64 s[0:1], 0
	s_addc_u32 s25, s25, s26
	s_mul_i32 s0, s7, s25
	s_mul_hi_u32 s1, s7, s27
	s_add_i32 s0, s1, s0
	s_mul_i32 s24, s24, s27
	s_add_i32 s0, s0, s24
	s_mul_i32 s7, s7, s27
	s_mul_hi_u32 s24, s25, s7
	s_mul_i32 s26, s25, s7
	s_mul_i32 s29, s27, s0
	s_mul_hi_u32 s7, s27, s7
	s_mul_hi_u32 s28, s27, s0
	s_add_u32 s7, s7, s29
	s_addc_u32 s28, 0, s28
	s_add_u32 s7, s7, s26
	s_mul_hi_u32 s1, s25, s0
	s_addc_u32 s7, s28, s24
	s_addc_u32 s1, s1, 0
	s_mul_i32 s0, s25, s0
	s_add_u32 s0, s7, s0
	s_addc_u32 s7, 0, s1
	s_add_u32 s24, s27, s0
	s_cselect_b64 s[0:1], -1, 0
	s_cmp_lg_u64 s[0:1], 0
	v_add_co_u32_e32 v0, vcc, v4, v10
	s_addc_u32 s7, s25, s7
	v_xor_b32_e32 v6, v0, v10
	v_mad_u64_u32 v[0:1], s[0:1], v6, s7, 0
	v_mul_hi_u32 v3, v6, s24
	v_addc_co_u32_e32 v2, vcc, v5, v10, vcc
	v_xor_b32_e32 v7, v2, v10
	v_add_co_u32_e32 v8, vcc, v3, v0
	v_addc_co_u32_e32 v9, vcc, 0, v1, vcc
	v_mad_u64_u32 v[0:1], s[0:1], v7, s24, 0
	v_mad_u64_u32 v[2:3], s[0:1], v7, s7, 0
	v_add_co_u32_e32 v0, vcc, v8, v0
	v_addc_co_u32_e32 v0, vcc, v9, v1, vcc
	v_addc_co_u32_e32 v1, vcc, 0, v3, vcc
	v_add_co_u32_e32 v2, vcc, v0, v2
	v_addc_co_u32_e32 v3, vcc, 0, v1, vcc
	v_mul_lo_u32 v8, s13, v2
	v_mul_lo_u32 v9, s12, v3
	v_mad_u64_u32 v[0:1], s[0:1], s12, v2, 0
	v_add3_u32 v1, v1, v9, v8
	v_sub_u32_e32 v8, v7, v1
	v_mov_b32_e32 v9, s13
	v_sub_co_u32_e32 v0, vcc, v6, v0
	v_subb_co_u32_e64 v6, s[0:1], v8, v9, vcc
	v_subrev_co_u32_e64 v8, s[0:1], s12, v0
	v_subbrev_co_u32_e64 v6, s[0:1], 0, v6, s[0:1]
	v_cmp_le_u32_e64 s[0:1], s13, v6
	v_cndmask_b32_e64 v9, 0, -1, s[0:1]
	v_cmp_le_u32_e64 s[0:1], s12, v8
	v_cndmask_b32_e64 v8, 0, -1, s[0:1]
	v_cmp_eq_u32_e64 s[0:1], s13, v6
	v_cndmask_b32_e64 v6, v9, v8, s[0:1]
	v_add_co_u32_e64 v8, s[0:1], 2, v2
	v_subb_co_u32_e32 v1, vcc, v7, v1, vcc
	v_addc_co_u32_e64 v9, s[0:1], 0, v3, s[0:1]
	v_cmp_le_u32_e32 vcc, s13, v1
	v_add_co_u32_e64 v11, s[0:1], 1, v2
	v_cndmask_b32_e64 v7, 0, -1, vcc
	v_cmp_le_u32_e32 vcc, s12, v0
	v_addc_co_u32_e64 v12, s[0:1], 0, v3, s[0:1]
	v_cndmask_b32_e64 v0, 0, -1, vcc
	v_cmp_eq_u32_e32 vcc, s13, v1
	v_cmp_ne_u32_e64 s[0:1], 0, v6
	v_cndmask_b32_e32 v0, v7, v0, vcc
	v_cndmask_b32_e64 v6, v12, v9, s[0:1]
	v_cmp_ne_u32_e32 vcc, 0, v0
	v_cndmask_b32_e64 v1, v11, v8, s[0:1]
	v_cndmask_b32_e32 v0, v3, v6, vcc
	v_cndmask_b32_e32 v1, v2, v1, vcc
	v_xor_b32_e32 v2, s6, v10
	v_xor_b32_e32 v3, v0, v2
	;; [unrolled: 1-line block ×3, first 2 shown]
	v_sub_co_u32_e32 v0, vcc, v0, v2
	v_subb_co_u32_e32 v1, vcc, v3, v2, vcc
.LBB32_3:
	s_andn2_saveexec_b64 s[0:1], s[2:3]
	s_cbranch_execz .LBB32_5
; %bb.4:
	v_cvt_f32_u32_e32 v0, s18
	s_sub_i32 s2, 0, s18
	v_rcp_iflag_f32_e32 v0, v0
	v_mul_f32_e32 v0, 0x4f7ffffe, v0
	v_cvt_u32_f32_e32 v0, v0
	v_mul_lo_u32 v1, s2, v0
	v_mul_hi_u32 v1, v0, v1
	v_add_u32_e32 v0, v0, v1
	v_mul_hi_u32 v0, v4, v0
	v_mul_lo_u32 v1, v0, s18
	v_add_u32_e32 v2, 1, v0
	v_sub_u32_e32 v1, v4, v1
	v_subrev_u32_e32 v3, s18, v1
	v_cmp_le_u32_e32 vcc, s18, v1
	v_cndmask_b32_e32 v1, v1, v3, vcc
	v_cndmask_b32_e32 v0, v0, v2, vcc
	v_add_u32_e32 v2, 1, v0
	v_cmp_le_u32_e32 vcc, s18, v1
	v_cndmask_b32_e32 v0, v0, v2, vcc
	v_mov_b32_e32 v1, 0
.LBB32_5:
	s_or_b64 exec, exec, s[0:1]
	v_mul_lo_u32 v6, s19, v0
	v_mul_lo_u32 v7, s18, v1
	v_mad_u64_u32 v[2:3], s[0:1], s18, v0, 0
	v_add3_u32 v3, v3, v7, v6
	v_sub_co_u32_e32 v6, vcc, v4, v2
	v_subb_co_u32_e32 v7, vcc, v5, v3, vcc
	v_or_b32_e32 v3, s17, v7
	v_mov_b32_e32 v2, 0
	v_cmp_ne_u64_e32 vcc, 0, v[2:3]
                                        ; implicit-def: $vgpr2_vgpr3
	s_and_saveexec_b64 s[0:1], vcc
	s_xor_b64 s[2:3], exec, s[0:1]
	s_cbranch_execz .LBB32_7
; %bb.6:
	s_ashr_i32 s6, s17, 31
	s_add_u32 s0, s16, s6
	s_mov_b32 s7, s6
	s_addc_u32 s1, s17, s6
	s_xor_b64 s[12:13], s[0:1], s[6:7]
	v_cvt_f32_u32_e32 v2, s12
	v_cvt_f32_u32_e32 v3, s13
	s_sub_u32 s7, 0, s12
	s_subb_u32 s18, 0, s13
	v_ashrrev_i32_e32 v11, 31, v7
	v_madmk_f32 v2, v3, 0x4f800000, v2
	v_rcp_f32_e32 v2, v2
	v_mul_f32_e32 v2, 0x5f7ffffc, v2
	v_mul_f32_e32 v3, 0x2f800000, v2
	v_trunc_f32_e32 v3, v3
	v_madmk_f32 v2, v3, 0xcf800000, v2
	v_cvt_u32_f32_e32 v3, v3
	v_cvt_u32_f32_e32 v2, v2
	v_readfirstlane_b32 s19, v3
	v_readfirstlane_b32 s0, v2
	s_mul_i32 s1, s7, s19
	s_mul_hi_u32 s25, s7, s0
	s_mul_i32 s24, s18, s0
	s_add_i32 s1, s25, s1
	s_add_i32 s1, s1, s24
	s_mul_i32 s26, s7, s0
	s_mul_i32 s25, s0, s1
	s_mul_hi_u32 s27, s0, s26
	s_mul_hi_u32 s24, s0, s1
	s_add_u32 s25, s27, s25
	s_addc_u32 s24, 0, s24
	s_mul_hi_u32 s28, s19, s26
	s_mul_i32 s26, s19, s26
	s_add_u32 s25, s25, s26
	s_mul_hi_u32 s27, s19, s1
	s_addc_u32 s24, s24, s28
	s_addc_u32 s25, s27, 0
	s_mul_i32 s1, s19, s1
	s_add_u32 s1, s24, s1
	s_addc_u32 s24, 0, s25
	s_add_u32 s25, s0, s1
	s_cselect_b64 s[0:1], -1, 0
	s_cmp_lg_u64 s[0:1], 0
	s_addc_u32 s19, s19, s24
	s_mul_i32 s0, s7, s19
	s_mul_hi_u32 s1, s7, s25
	s_add_i32 s0, s1, s0
	s_mul_i32 s18, s18, s25
	s_add_i32 s0, s0, s18
	s_mul_i32 s7, s7, s25
	s_mul_hi_u32 s18, s19, s7
	s_mul_i32 s24, s19, s7
	s_mul_i32 s27, s25, s0
	s_mul_hi_u32 s7, s25, s7
	s_mul_hi_u32 s26, s25, s0
	s_add_u32 s7, s7, s27
	s_addc_u32 s26, 0, s26
	s_add_u32 s7, s7, s24
	s_mul_hi_u32 s1, s19, s0
	s_addc_u32 s7, s26, s18
	s_addc_u32 s1, s1, 0
	s_mul_i32 s0, s19, s0
	s_add_u32 s0, s7, s0
	s_addc_u32 s7, 0, s1
	s_add_u32 s18, s25, s0
	s_cselect_b64 s[0:1], -1, 0
	s_cmp_lg_u64 s[0:1], 0
	v_add_co_u32_e32 v2, vcc, v6, v11
	s_addc_u32 s7, s19, s7
	v_xor_b32_e32 v12, v2, v11
	v_mad_u64_u32 v[2:3], s[0:1], v12, s7, 0
	v_mul_hi_u32 v9, v12, s18
	v_addc_co_u32_e32 v8, vcc, v7, v11, vcc
	v_xor_b32_e32 v13, v8, v11
	v_add_co_u32_e32 v14, vcc, v9, v2
	v_addc_co_u32_e32 v15, vcc, 0, v3, vcc
	v_mad_u64_u32 v[2:3], s[0:1], v13, s18, 0
	v_mad_u64_u32 v[8:9], s[0:1], v13, s7, 0
	v_add_co_u32_e32 v2, vcc, v14, v2
	v_addc_co_u32_e32 v2, vcc, v15, v3, vcc
	v_addc_co_u32_e32 v3, vcc, 0, v9, vcc
	v_add_co_u32_e32 v8, vcc, v2, v8
	v_addc_co_u32_e32 v9, vcc, 0, v3, vcc
	v_mul_lo_u32 v14, s13, v8
	v_mul_lo_u32 v15, s12, v9
	v_mad_u64_u32 v[2:3], s[0:1], s12, v8, 0
	v_add3_u32 v3, v3, v15, v14
	v_sub_u32_e32 v14, v13, v3
	v_mov_b32_e32 v15, s13
	v_sub_co_u32_e32 v2, vcc, v12, v2
	v_subb_co_u32_e64 v12, s[0:1], v14, v15, vcc
	v_subrev_co_u32_e64 v14, s[0:1], s12, v2
	v_subbrev_co_u32_e64 v12, s[0:1], 0, v12, s[0:1]
	v_cmp_le_u32_e64 s[0:1], s13, v12
	v_cndmask_b32_e64 v15, 0, -1, s[0:1]
	v_cmp_le_u32_e64 s[0:1], s12, v14
	v_cndmask_b32_e64 v14, 0, -1, s[0:1]
	v_cmp_eq_u32_e64 s[0:1], s13, v12
	v_cndmask_b32_e64 v12, v15, v14, s[0:1]
	v_add_co_u32_e64 v14, s[0:1], 2, v8
	v_subb_co_u32_e32 v3, vcc, v13, v3, vcc
	v_addc_co_u32_e64 v15, s[0:1], 0, v9, s[0:1]
	v_cmp_le_u32_e32 vcc, s13, v3
	v_add_co_u32_e64 v16, s[0:1], 1, v8
	v_cndmask_b32_e64 v13, 0, -1, vcc
	v_cmp_le_u32_e32 vcc, s12, v2
	v_addc_co_u32_e64 v17, s[0:1], 0, v9, s[0:1]
	v_cndmask_b32_e64 v2, 0, -1, vcc
	v_cmp_eq_u32_e32 vcc, s13, v3
	v_cmp_ne_u32_e64 s[0:1], 0, v12
	v_cndmask_b32_e32 v2, v13, v2, vcc
	v_cndmask_b32_e64 v12, v17, v15, s[0:1]
	v_cmp_ne_u32_e32 vcc, 0, v2
	v_cndmask_b32_e64 v3, v16, v14, s[0:1]
	v_cndmask_b32_e32 v2, v9, v12, vcc
	v_cndmask_b32_e32 v3, v8, v3, vcc
	v_xor_b32_e32 v8, s6, v11
	v_xor_b32_e32 v9, v2, v8
	;; [unrolled: 1-line block ×3, first 2 shown]
	v_sub_co_u32_e32 v2, vcc, v2, v8
	v_subb_co_u32_e32 v3, vcc, v9, v8, vcc
.LBB32_7:
	s_andn2_saveexec_b64 s[0:1], s[2:3]
	s_cbranch_execz .LBB32_9
; %bb.8:
	v_cvt_f32_u32_e32 v2, s16
	s_sub_i32 s2, 0, s16
	v_rcp_iflag_f32_e32 v2, v2
	v_mul_f32_e32 v2, 0x4f7ffffe, v2
	v_cvt_u32_f32_e32 v2, v2
	v_mul_lo_u32 v3, s2, v2
	v_mul_hi_u32 v3, v2, v3
	v_add_u32_e32 v2, v2, v3
	v_mul_hi_u32 v2, v6, v2
	v_mul_lo_u32 v3, v2, s16
	v_add_u32_e32 v8, 1, v2
	v_sub_u32_e32 v3, v6, v3
	v_subrev_u32_e32 v9, s16, v3
	v_cmp_le_u32_e32 vcc, s16, v3
	v_cndmask_b32_e32 v3, v3, v9, vcc
	v_cndmask_b32_e32 v2, v2, v8, vcc
	v_add_u32_e32 v8, 1, v2
	v_cmp_le_u32_e32 vcc, s16, v3
	v_cndmask_b32_e32 v2, v2, v8, vcc
	v_mov_b32_e32 v3, 0
.LBB32_9:
	s_or_b64 exec, exec, s[0:1]
	v_mul_lo_u32 v11, s17, v2
	v_mul_lo_u32 v12, s16, v3
	v_mad_u64_u32 v[8:9], s[0:1], s16, v2, 0
	v_add3_u32 v9, v9, v12, v11
	v_sub_co_u32_e32 v12, vcc, v6, v8
	v_subb_co_u32_e32 v13, vcc, v7, v9, vcc
	v_or_b32_e32 v7, s15, v13
	v_mov_b32_e32 v6, 0
	v_cmp_ne_u64_e32 vcc, 0, v[6:7]
                                        ; implicit-def: $vgpr6_vgpr7
	s_and_saveexec_b64 s[0:1], vcc
	s_xor_b64 s[2:3], exec, s[0:1]
	s_cbranch_execz .LBB32_11
; %bb.10:
	s_ashr_i32 s6, s15, 31
	s_add_u32 s0, s14, s6
	s_mov_b32 s7, s6
	s_addc_u32 s1, s15, s6
	s_xor_b64 s[12:13], s[0:1], s[6:7]
	v_cvt_f32_u32_e32 v6, s12
	v_cvt_f32_u32_e32 v7, s13
	s_sub_u32 s7, 0, s12
	s_subb_u32 s16, 0, s13
	v_ashrrev_i32_e32 v11, 31, v13
	v_madmk_f32 v6, v7, 0x4f800000, v6
	v_rcp_f32_e32 v6, v6
	v_mul_f32_e32 v6, 0x5f7ffffc, v6
	v_mul_f32_e32 v7, 0x2f800000, v6
	v_trunc_f32_e32 v7, v7
	v_madmk_f32 v6, v7, 0xcf800000, v6
	v_cvt_u32_f32_e32 v7, v7
	v_cvt_u32_f32_e32 v6, v6
	v_readfirstlane_b32 s17, v7
	v_readfirstlane_b32 s0, v6
	s_mul_i32 s1, s7, s17
	s_mul_hi_u32 s19, s7, s0
	s_mul_i32 s18, s16, s0
	s_add_i32 s1, s19, s1
	s_add_i32 s1, s1, s18
	s_mul_i32 s24, s7, s0
	s_mul_i32 s19, s0, s1
	s_mul_hi_u32 s25, s0, s24
	s_mul_hi_u32 s18, s0, s1
	s_add_u32 s19, s25, s19
	s_addc_u32 s18, 0, s18
	s_mul_hi_u32 s26, s17, s24
	s_mul_i32 s24, s17, s24
	s_add_u32 s19, s19, s24
	s_mul_hi_u32 s25, s17, s1
	s_addc_u32 s18, s18, s26
	s_addc_u32 s19, s25, 0
	s_mul_i32 s1, s17, s1
	s_add_u32 s1, s18, s1
	s_addc_u32 s18, 0, s19
	s_add_u32 s19, s0, s1
	s_cselect_b64 s[0:1], -1, 0
	s_cmp_lg_u64 s[0:1], 0
	s_addc_u32 s17, s17, s18
	s_mul_i32 s0, s7, s17
	s_mul_hi_u32 s1, s7, s19
	s_add_i32 s0, s1, s0
	s_mul_i32 s16, s16, s19
	s_add_i32 s0, s0, s16
	s_mul_i32 s7, s7, s19
	s_mul_hi_u32 s16, s17, s7
	s_mul_i32 s18, s17, s7
	s_mul_i32 s25, s19, s0
	s_mul_hi_u32 s7, s19, s7
	s_mul_hi_u32 s24, s19, s0
	s_add_u32 s7, s7, s25
	s_addc_u32 s24, 0, s24
	s_add_u32 s7, s7, s18
	s_mul_hi_u32 s1, s17, s0
	s_addc_u32 s7, s24, s16
	s_addc_u32 s1, s1, 0
	s_mul_i32 s0, s17, s0
	s_add_u32 s0, s7, s0
	s_addc_u32 s7, 0, s1
	s_add_u32 s16, s19, s0
	s_cselect_b64 s[0:1], -1, 0
	s_cmp_lg_u64 s[0:1], 0
	v_add_co_u32_e32 v6, vcc, v12, v11
	s_addc_u32 s7, s17, s7
	v_xor_b32_e32 v14, v6, v11
	v_mad_u64_u32 v[6:7], s[0:1], v14, s7, 0
	v_mul_hi_u32 v9, v14, s16
	v_addc_co_u32_e32 v8, vcc, v13, v11, vcc
	v_xor_b32_e32 v15, v8, v11
	v_add_co_u32_e32 v16, vcc, v9, v6
	v_addc_co_u32_e32 v17, vcc, 0, v7, vcc
	v_mad_u64_u32 v[6:7], s[0:1], v15, s16, 0
	v_mad_u64_u32 v[8:9], s[0:1], v15, s7, 0
	v_add_co_u32_e32 v6, vcc, v16, v6
	v_addc_co_u32_e32 v6, vcc, v17, v7, vcc
	v_addc_co_u32_e32 v7, vcc, 0, v9, vcc
	v_add_co_u32_e32 v8, vcc, v6, v8
	v_addc_co_u32_e32 v9, vcc, 0, v7, vcc
	v_mul_lo_u32 v16, s13, v8
	v_mul_lo_u32 v17, s12, v9
	v_mad_u64_u32 v[6:7], s[0:1], s12, v8, 0
	v_add3_u32 v7, v7, v17, v16
	v_sub_u32_e32 v16, v15, v7
	v_mov_b32_e32 v17, s13
	v_sub_co_u32_e32 v6, vcc, v14, v6
	v_subb_co_u32_e64 v14, s[0:1], v16, v17, vcc
	v_subrev_co_u32_e64 v16, s[0:1], s12, v6
	v_subbrev_co_u32_e64 v14, s[0:1], 0, v14, s[0:1]
	v_cmp_le_u32_e64 s[0:1], s13, v14
	v_cndmask_b32_e64 v17, 0, -1, s[0:1]
	v_cmp_le_u32_e64 s[0:1], s12, v16
	v_cndmask_b32_e64 v16, 0, -1, s[0:1]
	v_cmp_eq_u32_e64 s[0:1], s13, v14
	v_cndmask_b32_e64 v14, v17, v16, s[0:1]
	v_add_co_u32_e64 v16, s[0:1], 2, v8
	v_subb_co_u32_e32 v7, vcc, v15, v7, vcc
	v_addc_co_u32_e64 v17, s[0:1], 0, v9, s[0:1]
	v_cmp_le_u32_e32 vcc, s13, v7
	v_add_co_u32_e64 v18, s[0:1], 1, v8
	v_cndmask_b32_e64 v15, 0, -1, vcc
	v_cmp_le_u32_e32 vcc, s12, v6
	v_addc_co_u32_e64 v19, s[0:1], 0, v9, s[0:1]
	v_cndmask_b32_e64 v6, 0, -1, vcc
	v_cmp_eq_u32_e32 vcc, s13, v7
	v_cmp_ne_u32_e64 s[0:1], 0, v14
	v_cndmask_b32_e32 v6, v15, v6, vcc
	v_cndmask_b32_e64 v14, v19, v17, s[0:1]
	v_cmp_ne_u32_e32 vcc, 0, v6
	v_cndmask_b32_e64 v7, v18, v16, s[0:1]
	v_cndmask_b32_e32 v6, v9, v14, vcc
	v_cndmask_b32_e32 v7, v8, v7, vcc
	v_xor_b32_e32 v8, s6, v11
	v_xor_b32_e32 v9, v6, v8
	;; [unrolled: 1-line block ×3, first 2 shown]
	v_sub_co_u32_e32 v6, vcc, v6, v8
	v_subb_co_u32_e32 v7, vcc, v9, v8, vcc
.LBB32_11:
	s_andn2_saveexec_b64 s[0:1], s[2:3]
	s_cbranch_execz .LBB32_13
; %bb.12:
	v_cvt_f32_u32_e32 v6, s14
	s_sub_i32 s2, 0, s14
	v_rcp_iflag_f32_e32 v6, v6
	v_mul_f32_e32 v6, 0x4f7ffffe, v6
	v_cvt_u32_f32_e32 v6, v6
	v_mul_lo_u32 v7, s2, v6
	v_mul_hi_u32 v7, v6, v7
	v_add_u32_e32 v6, v6, v7
	v_mul_hi_u32 v6, v12, v6
	v_mul_lo_u32 v7, v6, s14
	v_add_u32_e32 v8, 1, v6
	v_sub_u32_e32 v7, v12, v7
	v_subrev_u32_e32 v9, s14, v7
	v_cmp_le_u32_e32 vcc, s14, v7
	v_cndmask_b32_e32 v7, v7, v9, vcc
	v_cndmask_b32_e32 v6, v6, v8, vcc
	v_add_u32_e32 v8, 1, v6
	v_cmp_le_u32_e32 vcc, s14, v7
	v_cndmask_b32_e32 v6, v6, v8, vcc
	v_mov_b32_e32 v7, 0
.LBB32_13:
	s_or_b64 exec, exec, s[0:1]
	s_load_dwordx16 s[36:51], s[4:5], 0x40
	v_mov_b32_e32 v8, 0
	s_waitcnt lgkmcnt(0)
	s_mul_i32 s0, s42, s41
	s_mul_hi_u32 s1, s42, s40
	s_mul_i32 s2, s43, s40
	s_mul_i32 s16, s42, s40
	s_add_i32 s17, s1, s0
	s_mul_i32 s0, s16, s45
	s_add_i32 s17, s17, s2
	s_mul_hi_u32 s1, s16, s44
	s_add_i32 s0, s1, s0
	s_mul_i32 s1, s17, s44
	s_add_i32 s18, s0, s1
	v_or_b32_e32 v9, s18, v5
	v_cmp_ne_u64_e32 vcc, 0, v[8:9]
	s_mul_i32 s19, s16, s44
                                        ; implicit-def: $vgpr8_vgpr9
	s_and_saveexec_b64 s[0:1], vcc
	s_xor_b64 s[2:3], exec, s[0:1]
	s_cbranch_execz .LBB32_15
; %bb.14:
	s_ashr_i32 s6, s18, 31
	s_add_u32 s0, s19, s6
	s_mov_b32 s7, s6
	s_addc_u32 s1, s18, s6
	s_xor_b64 s[12:13], s[0:1], s[6:7]
	v_cvt_f32_u32_e32 v8, s12
	v_cvt_f32_u32_e32 v9, s13
	s_sub_u32 s7, 0, s12
	s_subb_u32 s24, 0, s13
	v_madmk_f32 v8, v9, 0x4f800000, v8
	v_rcp_f32_e32 v8, v8
	v_mul_f32_e32 v8, 0x5f7ffffc, v8
	v_mul_f32_e32 v9, 0x2f800000, v8
	v_trunc_f32_e32 v9, v9
	v_madmk_f32 v8, v9, 0xcf800000, v8
	v_cvt_u32_f32_e32 v9, v9
	v_cvt_u32_f32_e32 v8, v8
	v_readfirstlane_b32 s25, v9
	v_readfirstlane_b32 s0, v8
	s_mul_i32 s1, s7, s25
	s_mul_hi_u32 s27, s7, s0
	s_mul_i32 s26, s24, s0
	s_add_i32 s1, s27, s1
	s_add_i32 s1, s1, s26
	s_mul_i32 s28, s7, s0
	s_mul_i32 s27, s0, s1
	s_mul_hi_u32 s29, s0, s28
	s_mul_hi_u32 s26, s0, s1
	s_add_u32 s27, s29, s27
	s_addc_u32 s26, 0, s26
	s_mul_hi_u32 s30, s25, s28
	s_mul_i32 s28, s25, s28
	s_add_u32 s27, s27, s28
	s_mul_hi_u32 s29, s25, s1
	s_addc_u32 s26, s26, s30
	s_addc_u32 s27, s29, 0
	s_mul_i32 s1, s25, s1
	s_add_u32 s1, s26, s1
	s_addc_u32 s26, 0, s27
	s_add_u32 s27, s0, s1
	s_cselect_b64 s[0:1], -1, 0
	s_cmp_lg_u64 s[0:1], 0
	s_addc_u32 s25, s25, s26
	s_mul_i32 s0, s7, s25
	s_mul_hi_u32 s1, s7, s27
	s_add_i32 s0, s1, s0
	s_mul_i32 s24, s24, s27
	s_add_i32 s0, s0, s24
	s_mul_i32 s7, s7, s27
	s_mul_hi_u32 s24, s25, s7
	s_mul_i32 s26, s25, s7
	s_mul_i32 s29, s27, s0
	s_mul_hi_u32 s7, s27, s7
	s_mul_hi_u32 s28, s27, s0
	s_add_u32 s7, s7, s29
	s_addc_u32 s28, 0, s28
	s_add_u32 s7, s7, s26
	s_mul_hi_u32 s1, s25, s0
	s_addc_u32 s7, s28, s24
	s_addc_u32 s1, s1, 0
	s_mul_i32 s0, s25, s0
	s_add_u32 s0, s7, s0
	s_addc_u32 s7, 0, s1
	s_add_u32 s24, s27, s0
	s_cselect_b64 s[0:1], -1, 0
	s_cmp_lg_u64 s[0:1], 0
	v_add_co_u32_e32 v8, vcc, v4, v10
	s_addc_u32 s7, s25, s7
	v_xor_b32_e32 v16, v8, v10
	v_mad_u64_u32 v[8:9], s[0:1], v16, s7, 0
	v_mul_hi_u32 v14, v16, s24
	v_addc_co_u32_e32 v11, vcc, v5, v10, vcc
	v_xor_b32_e32 v11, v11, v10
	v_add_co_u32_e32 v17, vcc, v14, v8
	v_addc_co_u32_e32 v18, vcc, 0, v9, vcc
	v_mad_u64_u32 v[8:9], s[0:1], v11, s24, 0
	v_mad_u64_u32 v[14:15], s[0:1], v11, s7, 0
	v_add_co_u32_e32 v8, vcc, v17, v8
	v_addc_co_u32_e32 v8, vcc, v18, v9, vcc
	v_addc_co_u32_e32 v9, vcc, 0, v15, vcc
	v_add_co_u32_e32 v14, vcc, v8, v14
	v_addc_co_u32_e32 v15, vcc, 0, v9, vcc
	v_mul_lo_u32 v17, s13, v14
	v_mul_lo_u32 v18, s12, v15
	v_mad_u64_u32 v[8:9], s[0:1], s12, v14, 0
	v_xor_b32_e32 v10, s6, v10
	v_add3_u32 v9, v9, v18, v17
	v_sub_u32_e32 v17, v11, v9
	v_mov_b32_e32 v18, s13
	v_sub_co_u32_e32 v8, vcc, v16, v8
	v_subb_co_u32_e64 v16, s[0:1], v17, v18, vcc
	v_subrev_co_u32_e64 v17, s[0:1], s12, v8
	v_subbrev_co_u32_e64 v16, s[0:1], 0, v16, s[0:1]
	v_cmp_le_u32_e64 s[0:1], s13, v16
	v_cndmask_b32_e64 v18, 0, -1, s[0:1]
	v_cmp_le_u32_e64 s[0:1], s12, v17
	v_cndmask_b32_e64 v17, 0, -1, s[0:1]
	v_cmp_eq_u32_e64 s[0:1], s13, v16
	v_cndmask_b32_e64 v16, v18, v17, s[0:1]
	v_add_co_u32_e64 v17, s[0:1], 2, v14
	v_subb_co_u32_e32 v9, vcc, v11, v9, vcc
	v_addc_co_u32_e64 v18, s[0:1], 0, v15, s[0:1]
	v_cmp_le_u32_e32 vcc, s13, v9
	v_add_co_u32_e64 v19, s[0:1], 1, v14
	v_cndmask_b32_e64 v11, 0, -1, vcc
	v_cmp_le_u32_e32 vcc, s12, v8
	v_addc_co_u32_e64 v20, s[0:1], 0, v15, s[0:1]
	v_cndmask_b32_e64 v8, 0, -1, vcc
	v_cmp_eq_u32_e32 vcc, s13, v9
	v_cmp_ne_u32_e64 s[0:1], 0, v16
	v_cndmask_b32_e32 v8, v11, v8, vcc
	v_cndmask_b32_e64 v16, v20, v18, s[0:1]
	v_cmp_ne_u32_e32 vcc, 0, v8
	v_cndmask_b32_e64 v9, v19, v17, s[0:1]
	v_cndmask_b32_e32 v8, v15, v16, vcc
	v_cndmask_b32_e32 v9, v14, v9, vcc
	v_xor_b32_e32 v11, v8, v10
	v_xor_b32_e32 v8, v9, v10
	v_sub_co_u32_e32 v8, vcc, v8, v10
	v_subb_co_u32_e32 v9, vcc, v11, v10, vcc
.LBB32_15:
	s_andn2_saveexec_b64 s[0:1], s[2:3]
	s_cbranch_execz .LBB32_17
; %bb.16:
	v_cvt_f32_u32_e32 v8, s19
	s_sub_i32 s2, 0, s19
	v_rcp_iflag_f32_e32 v8, v8
	v_mul_f32_e32 v8, 0x4f7ffffe, v8
	v_cvt_u32_f32_e32 v8, v8
	v_mul_lo_u32 v9, s2, v8
	v_mul_hi_u32 v9, v8, v9
	v_add_u32_e32 v8, v8, v9
	v_mul_hi_u32 v8, v4, v8
	v_mul_lo_u32 v9, v8, s19
	v_add_u32_e32 v10, 1, v8
	v_sub_u32_e32 v9, v4, v9
	v_subrev_u32_e32 v11, s19, v9
	v_cmp_le_u32_e32 vcc, s19, v9
	v_cndmask_b32_e32 v9, v9, v11, vcc
	v_cndmask_b32_e32 v8, v8, v10, vcc
	v_add_u32_e32 v10, 1, v8
	v_cmp_le_u32_e32 vcc, s19, v9
	v_cndmask_b32_e32 v8, v8, v10, vcc
	v_mov_b32_e32 v9, 0
.LBB32_17:
	s_or_b64 exec, exec, s[0:1]
	v_mul_lo_u32 v14, s18, v8
	v_mul_lo_u32 v15, s19, v9
	v_mad_u64_u32 v[10:11], s[0:1], s19, v8, 0
	v_add3_u32 v11, v11, v15, v14
	v_sub_co_u32_e32 v10, vcc, v4, v10
	v_subb_co_u32_e32 v11, vcc, v5, v11, vcc
	v_or_b32_e32 v5, s17, v11
	v_mov_b32_e32 v4, 0
	v_cmp_ne_u64_e32 vcc, 0, v[4:5]
                                        ; implicit-def: $vgpr4_vgpr5
	s_and_saveexec_b64 s[0:1], vcc
	s_xor_b64 s[2:3], exec, s[0:1]
	s_cbranch_execz .LBB32_19
; %bb.18:
	s_ashr_i32 s6, s17, 31
	s_add_u32 s0, s16, s6
	s_mov_b32 s7, s6
	s_addc_u32 s1, s17, s6
	s_xor_b64 s[12:13], s[0:1], s[6:7]
	v_cvt_f32_u32_e32 v4, s12
	v_cvt_f32_u32_e32 v5, s13
	s_sub_u32 s7, 0, s12
	s_subb_u32 s18, 0, s13
	v_ashrrev_i32_e32 v16, 31, v11
	v_madmk_f32 v4, v5, 0x4f800000, v4
	v_rcp_f32_e32 v4, v4
	v_mul_f32_e32 v4, 0x5f7ffffc, v4
	v_mul_f32_e32 v5, 0x2f800000, v4
	v_trunc_f32_e32 v5, v5
	v_madmk_f32 v4, v5, 0xcf800000, v4
	v_cvt_u32_f32_e32 v5, v5
	v_cvt_u32_f32_e32 v4, v4
	v_readfirstlane_b32 s19, v5
	v_readfirstlane_b32 s0, v4
	s_mul_i32 s1, s7, s19
	s_mul_hi_u32 s25, s7, s0
	s_mul_i32 s24, s18, s0
	s_add_i32 s1, s25, s1
	s_add_i32 s1, s1, s24
	s_mul_i32 s26, s7, s0
	s_mul_i32 s25, s0, s1
	s_mul_hi_u32 s27, s0, s26
	s_mul_hi_u32 s24, s0, s1
	s_add_u32 s25, s27, s25
	s_addc_u32 s24, 0, s24
	s_mul_hi_u32 s28, s19, s26
	s_mul_i32 s26, s19, s26
	s_add_u32 s25, s25, s26
	s_mul_hi_u32 s27, s19, s1
	s_addc_u32 s24, s24, s28
	s_addc_u32 s25, s27, 0
	s_mul_i32 s1, s19, s1
	s_add_u32 s1, s24, s1
	s_addc_u32 s24, 0, s25
	s_add_u32 s25, s0, s1
	s_cselect_b64 s[0:1], -1, 0
	s_cmp_lg_u64 s[0:1], 0
	s_addc_u32 s19, s19, s24
	s_mul_i32 s0, s7, s19
	s_mul_hi_u32 s1, s7, s25
	s_add_i32 s0, s1, s0
	s_mul_i32 s18, s18, s25
	s_add_i32 s0, s0, s18
	s_mul_i32 s7, s7, s25
	s_mul_hi_u32 s18, s19, s7
	s_mul_i32 s24, s19, s7
	s_mul_i32 s27, s25, s0
	s_mul_hi_u32 s7, s25, s7
	s_mul_hi_u32 s26, s25, s0
	s_add_u32 s7, s7, s27
	s_addc_u32 s26, 0, s26
	s_add_u32 s7, s7, s24
	s_mul_hi_u32 s1, s19, s0
	s_addc_u32 s7, s26, s18
	s_addc_u32 s1, s1, 0
	s_mul_i32 s0, s19, s0
	s_add_u32 s0, s7, s0
	s_addc_u32 s7, 0, s1
	s_add_u32 s18, s25, s0
	s_cselect_b64 s[0:1], -1, 0
	s_cmp_lg_u64 s[0:1], 0
	v_add_co_u32_e32 v4, vcc, v10, v16
	s_addc_u32 s7, s19, s7
	v_xor_b32_e32 v17, v4, v16
	v_mad_u64_u32 v[4:5], s[0:1], v17, s7, 0
	v_mul_hi_u32 v15, v17, s18
	v_addc_co_u32_e32 v14, vcc, v11, v16, vcc
	v_xor_b32_e32 v18, v14, v16
	v_add_co_u32_e32 v19, vcc, v15, v4
	v_addc_co_u32_e32 v20, vcc, 0, v5, vcc
	v_mad_u64_u32 v[4:5], s[0:1], v18, s18, 0
	v_mad_u64_u32 v[14:15], s[0:1], v18, s7, 0
	v_add_co_u32_e32 v4, vcc, v19, v4
	v_addc_co_u32_e32 v4, vcc, v20, v5, vcc
	v_addc_co_u32_e32 v5, vcc, 0, v15, vcc
	v_add_co_u32_e32 v14, vcc, v4, v14
	v_addc_co_u32_e32 v15, vcc, 0, v5, vcc
	v_mul_lo_u32 v19, s13, v14
	v_mul_lo_u32 v20, s12, v15
	v_mad_u64_u32 v[4:5], s[0:1], s12, v14, 0
	v_add3_u32 v5, v5, v20, v19
	v_sub_u32_e32 v19, v18, v5
	v_mov_b32_e32 v20, s13
	v_sub_co_u32_e32 v4, vcc, v17, v4
	v_subb_co_u32_e64 v17, s[0:1], v19, v20, vcc
	v_subrev_co_u32_e64 v19, s[0:1], s12, v4
	v_subbrev_co_u32_e64 v17, s[0:1], 0, v17, s[0:1]
	v_cmp_le_u32_e64 s[0:1], s13, v17
	v_cndmask_b32_e64 v20, 0, -1, s[0:1]
	v_cmp_le_u32_e64 s[0:1], s12, v19
	v_cndmask_b32_e64 v19, 0, -1, s[0:1]
	v_cmp_eq_u32_e64 s[0:1], s13, v17
	v_cndmask_b32_e64 v17, v20, v19, s[0:1]
	v_add_co_u32_e64 v19, s[0:1], 2, v14
	v_subb_co_u32_e32 v5, vcc, v18, v5, vcc
	v_addc_co_u32_e64 v20, s[0:1], 0, v15, s[0:1]
	v_cmp_le_u32_e32 vcc, s13, v5
	v_add_co_u32_e64 v21, s[0:1], 1, v14
	v_cndmask_b32_e64 v18, 0, -1, vcc
	v_cmp_le_u32_e32 vcc, s12, v4
	v_addc_co_u32_e64 v22, s[0:1], 0, v15, s[0:1]
	v_cndmask_b32_e64 v4, 0, -1, vcc
	v_cmp_eq_u32_e32 vcc, s13, v5
	v_cmp_ne_u32_e64 s[0:1], 0, v17
	v_cndmask_b32_e32 v4, v18, v4, vcc
	v_cndmask_b32_e64 v17, v22, v20, s[0:1]
	v_cmp_ne_u32_e32 vcc, 0, v4
	v_cndmask_b32_e64 v5, v21, v19, s[0:1]
	v_cndmask_b32_e32 v4, v15, v17, vcc
	v_cndmask_b32_e32 v5, v14, v5, vcc
	v_xor_b32_e32 v14, s6, v16
	v_xor_b32_e32 v15, v4, v14
	;; [unrolled: 1-line block ×3, first 2 shown]
	v_sub_co_u32_e32 v4, vcc, v4, v14
	v_subb_co_u32_e32 v5, vcc, v15, v14, vcc
.LBB32_19:
	s_andn2_saveexec_b64 s[0:1], s[2:3]
	s_cbranch_execz .LBB32_21
; %bb.20:
	v_cvt_f32_u32_e32 v4, s16
	s_sub_i32 s2, 0, s16
	v_rcp_iflag_f32_e32 v4, v4
	v_mul_f32_e32 v4, 0x4f7ffffe, v4
	v_cvt_u32_f32_e32 v4, v4
	v_mul_lo_u32 v5, s2, v4
	v_mul_hi_u32 v5, v4, v5
	v_add_u32_e32 v4, v4, v5
	v_mul_hi_u32 v4, v10, v4
	v_mul_lo_u32 v5, v4, s16
	v_add_u32_e32 v14, 1, v4
	v_sub_u32_e32 v5, v10, v5
	v_subrev_u32_e32 v15, s16, v5
	v_cmp_le_u32_e32 vcc, s16, v5
	v_cndmask_b32_e32 v5, v5, v15, vcc
	v_cndmask_b32_e32 v4, v4, v14, vcc
	v_add_u32_e32 v14, 1, v4
	v_cmp_le_u32_e32 vcc, s16, v5
	v_cndmask_b32_e32 v4, v4, v14, vcc
	v_mov_b32_e32 v5, 0
.LBB32_21:
	s_or_b64 exec, exec, s[0:1]
	v_mul_lo_u32 v16, s17, v4
	v_mul_lo_u32 v17, s16, v5
	v_mad_u64_u32 v[14:15], s[0:1], s16, v4, 0
	v_add3_u32 v15, v15, v17, v16
	v_sub_co_u32_e32 v14, vcc, v10, v14
	v_subb_co_u32_e32 v15, vcc, v11, v15, vcc
	v_or_b32_e32 v11, s41, v15
	v_mov_b32_e32 v10, 0
	v_cmp_ne_u64_e32 vcc, 0, v[10:11]
                                        ; implicit-def: $vgpr10_vgpr11
	s_and_saveexec_b64 s[0:1], vcc
	s_xor_b64 s[2:3], exec, s[0:1]
	s_cbranch_execz .LBB32_23
; %bb.22:
	s_ashr_i32 s6, s41, 31
	s_add_u32 s0, s40, s6
	s_mov_b32 s7, s6
	s_addc_u32 s1, s41, s6
	s_xor_b64 s[12:13], s[0:1], s[6:7]
	v_cvt_f32_u32_e32 v10, s12
	v_cvt_f32_u32_e32 v11, s13
	s_sub_u32 s7, 0, s12
	s_subb_u32 s16, 0, s13
	v_ashrrev_i32_e32 v18, 31, v15
	v_madmk_f32 v10, v11, 0x4f800000, v10
	v_rcp_f32_e32 v10, v10
	v_mul_f32_e32 v10, 0x5f7ffffc, v10
	v_mul_f32_e32 v11, 0x2f800000, v10
	v_trunc_f32_e32 v11, v11
	v_madmk_f32 v10, v11, 0xcf800000, v10
	v_cvt_u32_f32_e32 v11, v11
	v_cvt_u32_f32_e32 v10, v10
	v_readfirstlane_b32 s17, v11
	v_readfirstlane_b32 s0, v10
	s_mul_i32 s1, s7, s17
	s_mul_hi_u32 s19, s7, s0
	s_mul_i32 s18, s16, s0
	s_add_i32 s1, s19, s1
	s_add_i32 s1, s1, s18
	s_mul_i32 s24, s7, s0
	s_mul_i32 s19, s0, s1
	s_mul_hi_u32 s25, s0, s24
	s_mul_hi_u32 s18, s0, s1
	s_add_u32 s19, s25, s19
	s_addc_u32 s18, 0, s18
	s_mul_hi_u32 s26, s17, s24
	s_mul_i32 s24, s17, s24
	s_add_u32 s19, s19, s24
	s_mul_hi_u32 s25, s17, s1
	s_addc_u32 s18, s18, s26
	s_addc_u32 s19, s25, 0
	s_mul_i32 s1, s17, s1
	s_add_u32 s1, s18, s1
	s_addc_u32 s18, 0, s19
	s_add_u32 s19, s0, s1
	s_cselect_b64 s[0:1], -1, 0
	s_cmp_lg_u64 s[0:1], 0
	s_addc_u32 s17, s17, s18
	s_mul_i32 s0, s7, s17
	s_mul_hi_u32 s1, s7, s19
	s_add_i32 s0, s1, s0
	s_mul_i32 s16, s16, s19
	s_add_i32 s0, s0, s16
	s_mul_i32 s7, s7, s19
	s_mul_hi_u32 s16, s17, s7
	s_mul_i32 s18, s17, s7
	s_mul_i32 s25, s19, s0
	s_mul_hi_u32 s7, s19, s7
	s_mul_hi_u32 s24, s19, s0
	s_add_u32 s7, s7, s25
	s_addc_u32 s24, 0, s24
	s_add_u32 s7, s7, s18
	s_mul_hi_u32 s1, s17, s0
	s_addc_u32 s7, s24, s16
	s_addc_u32 s1, s1, 0
	s_mul_i32 s0, s17, s0
	s_add_u32 s0, s7, s0
	s_addc_u32 s7, 0, s1
	s_add_u32 s16, s19, s0
	s_cselect_b64 s[0:1], -1, 0
	s_cmp_lg_u64 s[0:1], 0
	v_add_co_u32_e32 v10, vcc, v14, v18
	s_addc_u32 s7, s17, s7
	v_xor_b32_e32 v19, v10, v18
	v_mad_u64_u32 v[10:11], s[0:1], v19, s7, 0
	v_mul_hi_u32 v17, v19, s16
	v_addc_co_u32_e32 v16, vcc, v15, v18, vcc
	v_xor_b32_e32 v20, v16, v18
	v_add_co_u32_e32 v21, vcc, v17, v10
	v_addc_co_u32_e32 v22, vcc, 0, v11, vcc
	v_mad_u64_u32 v[10:11], s[0:1], v20, s16, 0
	v_mad_u64_u32 v[16:17], s[0:1], v20, s7, 0
	v_add_co_u32_e32 v10, vcc, v21, v10
	v_addc_co_u32_e32 v10, vcc, v22, v11, vcc
	v_addc_co_u32_e32 v11, vcc, 0, v17, vcc
	v_add_co_u32_e32 v16, vcc, v10, v16
	v_addc_co_u32_e32 v17, vcc, 0, v11, vcc
	v_mul_lo_u32 v21, s13, v16
	v_mul_lo_u32 v22, s12, v17
	v_mad_u64_u32 v[10:11], s[0:1], s12, v16, 0
	v_add3_u32 v11, v11, v22, v21
	v_sub_u32_e32 v21, v20, v11
	v_mov_b32_e32 v22, s13
	v_sub_co_u32_e32 v10, vcc, v19, v10
	v_subb_co_u32_e64 v19, s[0:1], v21, v22, vcc
	v_subrev_co_u32_e64 v21, s[0:1], s12, v10
	v_subbrev_co_u32_e64 v19, s[0:1], 0, v19, s[0:1]
	v_cmp_le_u32_e64 s[0:1], s13, v19
	v_cndmask_b32_e64 v22, 0, -1, s[0:1]
	v_cmp_le_u32_e64 s[0:1], s12, v21
	v_cndmask_b32_e64 v21, 0, -1, s[0:1]
	v_cmp_eq_u32_e64 s[0:1], s13, v19
	v_cndmask_b32_e64 v19, v22, v21, s[0:1]
	v_add_co_u32_e64 v21, s[0:1], 2, v16
	v_subb_co_u32_e32 v11, vcc, v20, v11, vcc
	v_addc_co_u32_e64 v22, s[0:1], 0, v17, s[0:1]
	v_cmp_le_u32_e32 vcc, s13, v11
	v_add_co_u32_e64 v23, s[0:1], 1, v16
	v_cndmask_b32_e64 v20, 0, -1, vcc
	v_cmp_le_u32_e32 vcc, s12, v10
	v_addc_co_u32_e64 v24, s[0:1], 0, v17, s[0:1]
	v_cndmask_b32_e64 v10, 0, -1, vcc
	v_cmp_eq_u32_e32 vcc, s13, v11
	v_cmp_ne_u32_e64 s[0:1], 0, v19
	v_cndmask_b32_e32 v10, v20, v10, vcc
	v_cndmask_b32_e64 v19, v24, v22, s[0:1]
	v_cmp_ne_u32_e32 vcc, 0, v10
	v_cndmask_b32_e64 v11, v23, v21, s[0:1]
	v_cndmask_b32_e32 v10, v17, v19, vcc
	v_cndmask_b32_e32 v11, v16, v11, vcc
	v_xor_b32_e32 v16, s6, v18
	v_xor_b32_e32 v17, v10, v16
	;; [unrolled: 1-line block ×3, first 2 shown]
	v_sub_co_u32_e32 v10, vcc, v10, v16
	v_subb_co_u32_e32 v11, vcc, v17, v16, vcc
.LBB32_23:
	s_andn2_saveexec_b64 s[0:1], s[2:3]
	s_cbranch_execz .LBB32_25
; %bb.24:
	v_cvt_f32_u32_e32 v10, s40
	s_sub_i32 s2, 0, s40
	v_rcp_iflag_f32_e32 v10, v10
	v_mul_f32_e32 v10, 0x4f7ffffe, v10
	v_cvt_u32_f32_e32 v10, v10
	v_mul_lo_u32 v11, s2, v10
	v_mul_hi_u32 v11, v10, v11
	v_add_u32_e32 v10, v10, v11
	v_mul_hi_u32 v10, v14, v10
	v_mul_lo_u32 v11, v10, s40
	v_add_u32_e32 v16, 1, v10
	v_sub_u32_e32 v11, v14, v11
	v_subrev_u32_e32 v17, s40, v11
	v_cmp_le_u32_e32 vcc, s40, v11
	v_cndmask_b32_e32 v11, v11, v17, vcc
	v_cndmask_b32_e32 v10, v10, v16, vcc
	v_add_u32_e32 v16, 1, v10
	v_cmp_le_u32_e32 vcc, s40, v11
	v_cndmask_b32_e32 v10, v10, v16, vcc
	v_mov_b32_e32 v11, 0
.LBB32_25:
	s_or_b64 exec, exec, s[0:1]
	v_mul_lo_u32 v18, v7, s14
	v_mul_lo_u32 v19, v6, s15
	v_mad_u64_u32 v[16:17], s[0:1], v6, s14, 0
	v_mul_lo_u32 v7, v7, s22
	v_mul_lo_u32 v3, v3, s36
	v_add3_u32 v17, v17, v19, v18
	v_sub_co_u32_e32 v16, vcc, v12, v16
	v_subb_co_u32_e32 v17, vcc, v13, v17, vcc
	v_mov_b32_e32 v12, s8
	v_mov_b32_e32 v13, s9
	v_mul_lo_u32 v18, v16, s21
	v_mul_lo_u32 v17, v17, s20
	v_mad_u64_u32 v[12:13], s[0:1], v16, s20, v[12:13]
	v_mul_lo_u32 v1, v1, s38
	v_add3_u32 v13, v17, v13, v18
	v_mad_u64_u32 v[12:13], s[0:1], v6, s22, v[12:13]
	v_mul_lo_u32 v6, v6, s23
	v_add3_u32 v13, v7, v13, v6
	v_mad_u64_u32 v[6:7], s[0:1], v2, s36, v[12:13]
	v_mul_lo_u32 v2, v2, s37
	v_mul_lo_u32 v12, v10, s41
	v_add3_u32 v7, v3, v7, v2
	v_mad_u64_u32 v[2:3], s[0:1], v0, s38, v[6:7]
	v_mul_lo_u32 v0, v0, s39
	v_mul_lo_u32 v7, v11, s40
	v_add3_u32 v3, v1, v3, v0
	global_load_dword v6, v[2:3], off
	v_mad_u64_u32 v[0:1], s[0:1], v10, s40, 0
	v_mov_b32_e32 v2, s10
	v_mov_b32_e32 v3, s11
	v_add3_u32 v1, v1, v12, v7
	v_sub_co_u32_e32 v0, vcc, v14, v0
	v_subb_co_u32_e32 v1, vcc, v15, v1, vcc
	v_mul_lo_u32 v7, v0, s47
	v_mul_lo_u32 v12, v1, s46
	v_mad_u64_u32 v[0:1], s[0:1], v0, s46, v[2:3]
	v_mul_lo_u32 v2, v10, s49
	v_mul_lo_u32 v3, v11, s48
	v_add3_u32 v1, v12, v1, v7
	v_mad_u64_u32 v[0:1], s[0:1], v10, s48, v[0:1]
	v_add3_u32 v1, v3, v1, v2
	v_mad_u64_u32 v[0:1], s[0:1], v4, s50, v[0:1]
	v_mul_lo_u32 v2, v4, s51
	v_mul_lo_u32 v3, v5, s50
	s_load_dwordx2 s[0:1], s[4:5], 0x80
	v_add3_u32 v1, v3, v1, v2
	s_waitcnt lgkmcnt(0)
	v_mad_u64_u32 v[0:1], s[2:3], v8, s0, v[0:1]
	v_mul_lo_u32 v2, v8, s1
	v_mul_lo_u32 v3, v9, s0
	v_add3_u32 v1, v3, v1, v2
	s_waitcnt vmcnt(0)
	v_cvt_i32_f32_e32 v4, v6
	global_store_dword v[0:1], v4, off
.LBB32_26:
	s_endpgm
	.section	.rodata,"a",@progbits
	.p2align	6, 0x0
	.amdhsa_kernel _ZL10cpy_scalarIXadL_ZL12cpy_1_scalarIfiEvPKcPcEEEvS2_S3_lllllllllllllll
		.amdhsa_group_segment_fixed_size 0
		.amdhsa_private_segment_fixed_size 0
		.amdhsa_kernarg_size 392
		.amdhsa_user_sgpr_count 6
		.amdhsa_user_sgpr_private_segment_buffer 1
		.amdhsa_user_sgpr_dispatch_ptr 0
		.amdhsa_user_sgpr_queue_ptr 0
		.amdhsa_user_sgpr_kernarg_segment_ptr 1
		.amdhsa_user_sgpr_dispatch_id 0
		.amdhsa_user_sgpr_flat_scratch_init 0
		.amdhsa_user_sgpr_private_segment_size 0
		.amdhsa_uses_dynamic_stack 0
		.amdhsa_system_sgpr_private_segment_wavefront_offset 0
		.amdhsa_system_sgpr_workgroup_id_x 1
		.amdhsa_system_sgpr_workgroup_id_y 0
		.amdhsa_system_sgpr_workgroup_id_z 0
		.amdhsa_system_sgpr_workgroup_info 0
		.amdhsa_system_vgpr_workitem_id 0
		.amdhsa_next_free_vgpr 25
		.amdhsa_next_free_sgpr 52
		.amdhsa_reserve_vcc 1
		.amdhsa_reserve_flat_scratch 0
		.amdhsa_float_round_mode_32 0
		.amdhsa_float_round_mode_16_64 0
		.amdhsa_float_denorm_mode_32 3
		.amdhsa_float_denorm_mode_16_64 3
		.amdhsa_dx10_clamp 1
		.amdhsa_ieee_mode 1
		.amdhsa_fp16_overflow 0
		.amdhsa_exception_fp_ieee_invalid_op 0
		.amdhsa_exception_fp_denorm_src 0
		.amdhsa_exception_fp_ieee_div_zero 0
		.amdhsa_exception_fp_ieee_overflow 0
		.amdhsa_exception_fp_ieee_underflow 0
		.amdhsa_exception_fp_ieee_inexact 0
		.amdhsa_exception_int_div_zero 0
	.end_amdhsa_kernel
	.section	.text._ZL10cpy_scalarIXadL_ZL12cpy_1_scalarIfiEvPKcPcEEEvS2_S3_lllllllllllllll,"axG",@progbits,_ZL10cpy_scalarIXadL_ZL12cpy_1_scalarIfiEvPKcPcEEEvS2_S3_lllllllllllllll,comdat
.Lfunc_end32:
	.size	_ZL10cpy_scalarIXadL_ZL12cpy_1_scalarIfiEvPKcPcEEEvS2_S3_lllllllllllllll, .Lfunc_end32-_ZL10cpy_scalarIXadL_ZL12cpy_1_scalarIfiEvPKcPcEEEvS2_S3_lllllllllllllll
                                        ; -- End function
	.set _ZL10cpy_scalarIXadL_ZL12cpy_1_scalarIfiEvPKcPcEEEvS2_S3_lllllllllllllll.num_vgpr, 25
	.set _ZL10cpy_scalarIXadL_ZL12cpy_1_scalarIfiEvPKcPcEEEvS2_S3_lllllllllllllll.num_agpr, 0
	.set _ZL10cpy_scalarIXadL_ZL12cpy_1_scalarIfiEvPKcPcEEEvS2_S3_lllllllllllllll.numbered_sgpr, 52
	.set _ZL10cpy_scalarIXadL_ZL12cpy_1_scalarIfiEvPKcPcEEEvS2_S3_lllllllllllllll.num_named_barrier, 0
	.set _ZL10cpy_scalarIXadL_ZL12cpy_1_scalarIfiEvPKcPcEEEvS2_S3_lllllllllllllll.private_seg_size, 0
	.set _ZL10cpy_scalarIXadL_ZL12cpy_1_scalarIfiEvPKcPcEEEvS2_S3_lllllllllllllll.uses_vcc, 1
	.set _ZL10cpy_scalarIXadL_ZL12cpy_1_scalarIfiEvPKcPcEEEvS2_S3_lllllllllllllll.uses_flat_scratch, 0
	.set _ZL10cpy_scalarIXadL_ZL12cpy_1_scalarIfiEvPKcPcEEEvS2_S3_lllllllllllllll.has_dyn_sized_stack, 0
	.set _ZL10cpy_scalarIXadL_ZL12cpy_1_scalarIfiEvPKcPcEEEvS2_S3_lllllllllllllll.has_recursion, 0
	.set _ZL10cpy_scalarIXadL_ZL12cpy_1_scalarIfiEvPKcPcEEEvS2_S3_lllllllllllllll.has_indirect_call, 0
	.section	.AMDGPU.csdata,"",@progbits
; Kernel info:
; codeLenInByte = 5200
; TotalNumSgprs: 56
; NumVgprs: 25
; ScratchSize: 0
; MemoryBound: 0
; FloatMode: 240
; IeeeMode: 1
; LDSByteSize: 0 bytes/workgroup (compile time only)
; SGPRBlocks: 6
; VGPRBlocks: 6
; NumSGPRsForWavesPerEU: 56
; NumVGPRsForWavesPerEU: 25
; Occupancy: 9
; WaveLimiterHint : 0
; COMPUTE_PGM_RSRC2:SCRATCH_EN: 0
; COMPUTE_PGM_RSRC2:USER_SGPR: 6
; COMPUTE_PGM_RSRC2:TRAP_HANDLER: 0
; COMPUTE_PGM_RSRC2:TGID_X_EN: 1
; COMPUTE_PGM_RSRC2:TGID_Y_EN: 0
; COMPUTE_PGM_RSRC2:TGID_Z_EN: 0
; COMPUTE_PGM_RSRC2:TIDIG_COMP_CNT: 0
	.section	.text._ZL21cpy_scalar_contiguousIifEvPKcPcl,"axG",@progbits,_ZL21cpy_scalar_contiguousIifEvPKcPcl,comdat
	.globl	_ZL21cpy_scalar_contiguousIifEvPKcPcl ; -- Begin function _ZL21cpy_scalar_contiguousIifEvPKcPcl
	.p2align	8
	.type	_ZL21cpy_scalar_contiguousIifEvPKcPcl,@function
_ZL21cpy_scalar_contiguousIifEvPKcPcl:  ; @_ZL21cpy_scalar_contiguousIifEvPKcPcl
; %bb.0:
	s_load_dword s2, s[4:5], 0x24
	s_load_dwordx2 s[0:1], s[4:5], 0x10
	v_mov_b32_e32 v1, 0
	v_mov_b32_e32 v2, s6
	s_waitcnt lgkmcnt(0)
	s_and_b32 s2, s2, 0xffff
	v_mad_u64_u32 v[0:1], s[2:3], s2, v2, v[0:1]
	v_cmp_gt_i64_e32 vcc, s[0:1], v[0:1]
	s_and_saveexec_b64 s[0:1], vcc
	s_cbranch_execz .LBB33_2
; %bb.1:
	s_load_dwordx4 s[0:3], s[4:5], 0x0
	v_lshlrev_b64 v[0:1], 2, v[0:1]
	s_waitcnt lgkmcnt(0)
	v_mov_b32_e32 v3, s1
	v_add_co_u32_e32 v2, vcc, s0, v0
	v_addc_co_u32_e32 v3, vcc, v3, v1, vcc
	global_load_dword v2, v[2:3], off
	v_mov_b32_e32 v3, s3
	v_add_co_u32_e32 v0, vcc, s2, v0
	v_addc_co_u32_e32 v1, vcc, v3, v1, vcc
	s_waitcnt vmcnt(0)
	v_cvt_f32_i32_e32 v2, v2
	global_store_dword v[0:1], v2, off
.LBB33_2:
	s_endpgm
	.section	.rodata,"a",@progbits
	.p2align	6, 0x0
	.amdhsa_kernel _ZL21cpy_scalar_contiguousIifEvPKcPcl
		.amdhsa_group_segment_fixed_size 0
		.amdhsa_private_segment_fixed_size 0
		.amdhsa_kernarg_size 280
		.amdhsa_user_sgpr_count 6
		.amdhsa_user_sgpr_private_segment_buffer 1
		.amdhsa_user_sgpr_dispatch_ptr 0
		.amdhsa_user_sgpr_queue_ptr 0
		.amdhsa_user_sgpr_kernarg_segment_ptr 1
		.amdhsa_user_sgpr_dispatch_id 0
		.amdhsa_user_sgpr_flat_scratch_init 0
		.amdhsa_user_sgpr_private_segment_size 0
		.amdhsa_uses_dynamic_stack 0
		.amdhsa_system_sgpr_private_segment_wavefront_offset 0
		.amdhsa_system_sgpr_workgroup_id_x 1
		.amdhsa_system_sgpr_workgroup_id_y 0
		.amdhsa_system_sgpr_workgroup_id_z 0
		.amdhsa_system_sgpr_workgroup_info 0
		.amdhsa_system_vgpr_workitem_id 0
		.amdhsa_next_free_vgpr 4
		.amdhsa_next_free_sgpr 7
		.amdhsa_reserve_vcc 1
		.amdhsa_reserve_flat_scratch 0
		.amdhsa_float_round_mode_32 0
		.amdhsa_float_round_mode_16_64 0
		.amdhsa_float_denorm_mode_32 3
		.amdhsa_float_denorm_mode_16_64 3
		.amdhsa_dx10_clamp 1
		.amdhsa_ieee_mode 1
		.amdhsa_fp16_overflow 0
		.amdhsa_exception_fp_ieee_invalid_op 0
		.amdhsa_exception_fp_denorm_src 0
		.amdhsa_exception_fp_ieee_div_zero 0
		.amdhsa_exception_fp_ieee_overflow 0
		.amdhsa_exception_fp_ieee_underflow 0
		.amdhsa_exception_fp_ieee_inexact 0
		.amdhsa_exception_int_div_zero 0
	.end_amdhsa_kernel
	.section	.text._ZL21cpy_scalar_contiguousIifEvPKcPcl,"axG",@progbits,_ZL21cpy_scalar_contiguousIifEvPKcPcl,comdat
.Lfunc_end33:
	.size	_ZL21cpy_scalar_contiguousIifEvPKcPcl, .Lfunc_end33-_ZL21cpy_scalar_contiguousIifEvPKcPcl
                                        ; -- End function
	.set _ZL21cpy_scalar_contiguousIifEvPKcPcl.num_vgpr, 4
	.set _ZL21cpy_scalar_contiguousIifEvPKcPcl.num_agpr, 0
	.set _ZL21cpy_scalar_contiguousIifEvPKcPcl.numbered_sgpr, 7
	.set _ZL21cpy_scalar_contiguousIifEvPKcPcl.num_named_barrier, 0
	.set _ZL21cpy_scalar_contiguousIifEvPKcPcl.private_seg_size, 0
	.set _ZL21cpy_scalar_contiguousIifEvPKcPcl.uses_vcc, 1
	.set _ZL21cpy_scalar_contiguousIifEvPKcPcl.uses_flat_scratch, 0
	.set _ZL21cpy_scalar_contiguousIifEvPKcPcl.has_dyn_sized_stack, 0
	.set _ZL21cpy_scalar_contiguousIifEvPKcPcl.has_recursion, 0
	.set _ZL21cpy_scalar_contiguousIifEvPKcPcl.has_indirect_call, 0
	.section	.AMDGPU.csdata,"",@progbits
; Kernel info:
; codeLenInByte = 128
; TotalNumSgprs: 11
; NumVgprs: 4
; ScratchSize: 0
; MemoryBound: 0
; FloatMode: 240
; IeeeMode: 1
; LDSByteSize: 0 bytes/workgroup (compile time only)
; SGPRBlocks: 1
; VGPRBlocks: 0
; NumSGPRsForWavesPerEU: 11
; NumVGPRsForWavesPerEU: 4
; Occupancy: 10
; WaveLimiterHint : 0
; COMPUTE_PGM_RSRC2:SCRATCH_EN: 0
; COMPUTE_PGM_RSRC2:USER_SGPR: 6
; COMPUTE_PGM_RSRC2:TRAP_HANDLER: 0
; COMPUTE_PGM_RSRC2:TGID_X_EN: 1
; COMPUTE_PGM_RSRC2:TGID_Y_EN: 0
; COMPUTE_PGM_RSRC2:TGID_Z_EN: 0
; COMPUTE_PGM_RSRC2:TIDIG_COMP_CNT: 0
	.section	.text._ZL10cpy_scalarIXadL_ZL12cpy_1_scalarIifEvPKcPcEEEvS2_S3_lllllllllllllll,"axG",@progbits,_ZL10cpy_scalarIXadL_ZL12cpy_1_scalarIifEvPKcPcEEEvS2_S3_lllllllllllllll,comdat
	.globl	_ZL10cpy_scalarIXadL_ZL12cpy_1_scalarIifEvPKcPcEEEvS2_S3_lllllllllllllll ; -- Begin function _ZL10cpy_scalarIXadL_ZL12cpy_1_scalarIifEvPKcPcEEEvS2_S3_lllllllllllllll
	.p2align	8
	.type	_ZL10cpy_scalarIXadL_ZL12cpy_1_scalarIifEvPKcPcEEEvS2_S3_lllllllllllllll,@function
_ZL10cpy_scalarIXadL_ZL12cpy_1_scalarIifEvPKcPcEEEvS2_S3_lllllllllllllll: ; @_ZL10cpy_scalarIXadL_ZL12cpy_1_scalarIifEvPKcPcEEEvS2_S3_lllllllllllllll
; %bb.0:
	s_load_dword s0, s[4:5], 0x94
	v_mov_b32_e32 v2, 0
	s_load_dwordx16 s[8:23], s[4:5], 0x0
	v_mov_b32_e32 v1, v2
	v_mov_b32_e32 v3, s6
	s_waitcnt lgkmcnt(0)
	s_and_b32 s0, s0, 0xffff
	v_mad_u64_u32 v[4:5], s[0:1], s0, v3, v[0:1]
	v_cmp_gt_i64_e32 vcc, s[12:13], v[4:5]
	s_and_saveexec_b64 s[0:1], vcc
	s_cbranch_execz .LBB34_26
; %bb.1:
	s_mul_i32 s0, s16, s15
	s_mul_hi_u32 s1, s16, s14
	s_add_i32 s0, s1, s0
	s_mul_i32 s1, s17, s14
	s_mul_i32 s16, s16, s14
	s_add_i32 s17, s0, s1
	s_mul_i32 s0, s16, s19
	s_mul_hi_u32 s1, s16, s18
	s_add_i32 s0, s1, s0
	s_mul_i32 s1, s17, s18
	s_add_i32 s19, s0, s1
	v_or_b32_e32 v3, s19, v5
	v_cmp_ne_u64_e32 vcc, 0, v[2:3]
	s_mul_i32 s18, s16, s18
	v_ashrrev_i32_e32 v10, 31, v5
                                        ; implicit-def: $vgpr0_vgpr1
	s_and_saveexec_b64 s[0:1], vcc
	s_xor_b64 s[2:3], exec, s[0:1]
	s_cbranch_execz .LBB34_3
; %bb.2:
	s_ashr_i32 s6, s19, 31
	s_add_u32 s0, s18, s6
	s_mov_b32 s7, s6
	s_addc_u32 s1, s19, s6
	s_xor_b64 s[12:13], s[0:1], s[6:7]
	v_cvt_f32_u32_e32 v0, s12
	v_cvt_f32_u32_e32 v1, s13
	s_sub_u32 s7, 0, s12
	s_subb_u32 s24, 0, s13
	v_madmk_f32 v0, v1, 0x4f800000, v0
	v_rcp_f32_e32 v0, v0
	v_mul_f32_e32 v0, 0x5f7ffffc, v0
	v_mul_f32_e32 v1, 0x2f800000, v0
	v_trunc_f32_e32 v1, v1
	v_madmk_f32 v0, v1, 0xcf800000, v0
	v_cvt_u32_f32_e32 v1, v1
	v_cvt_u32_f32_e32 v0, v0
	v_readfirstlane_b32 s25, v1
	v_readfirstlane_b32 s0, v0
	s_mul_i32 s1, s7, s25
	s_mul_hi_u32 s27, s7, s0
	s_mul_i32 s26, s24, s0
	s_add_i32 s1, s27, s1
	s_add_i32 s1, s1, s26
	s_mul_i32 s28, s7, s0
	s_mul_i32 s27, s0, s1
	s_mul_hi_u32 s29, s0, s28
	s_mul_hi_u32 s26, s0, s1
	s_add_u32 s27, s29, s27
	s_addc_u32 s26, 0, s26
	s_mul_hi_u32 s30, s25, s28
	s_mul_i32 s28, s25, s28
	s_add_u32 s27, s27, s28
	s_mul_hi_u32 s29, s25, s1
	s_addc_u32 s26, s26, s30
	s_addc_u32 s27, s29, 0
	s_mul_i32 s1, s25, s1
	s_add_u32 s1, s26, s1
	s_addc_u32 s26, 0, s27
	s_add_u32 s27, s0, s1
	s_cselect_b64 s[0:1], -1, 0
	s_cmp_lg_u64 s[0:1], 0
	s_addc_u32 s25, s25, s26
	s_mul_i32 s0, s7, s25
	s_mul_hi_u32 s1, s7, s27
	s_add_i32 s0, s1, s0
	s_mul_i32 s24, s24, s27
	s_add_i32 s0, s0, s24
	s_mul_i32 s7, s7, s27
	s_mul_hi_u32 s24, s25, s7
	s_mul_i32 s26, s25, s7
	s_mul_i32 s29, s27, s0
	s_mul_hi_u32 s7, s27, s7
	s_mul_hi_u32 s28, s27, s0
	s_add_u32 s7, s7, s29
	s_addc_u32 s28, 0, s28
	s_add_u32 s7, s7, s26
	s_mul_hi_u32 s1, s25, s0
	s_addc_u32 s7, s28, s24
	s_addc_u32 s1, s1, 0
	s_mul_i32 s0, s25, s0
	s_add_u32 s0, s7, s0
	s_addc_u32 s7, 0, s1
	s_add_u32 s24, s27, s0
	s_cselect_b64 s[0:1], -1, 0
	s_cmp_lg_u64 s[0:1], 0
	v_add_co_u32_e32 v0, vcc, v4, v10
	s_addc_u32 s7, s25, s7
	v_xor_b32_e32 v6, v0, v10
	v_mad_u64_u32 v[0:1], s[0:1], v6, s7, 0
	v_mul_hi_u32 v3, v6, s24
	v_addc_co_u32_e32 v2, vcc, v5, v10, vcc
	v_xor_b32_e32 v7, v2, v10
	v_add_co_u32_e32 v8, vcc, v3, v0
	v_addc_co_u32_e32 v9, vcc, 0, v1, vcc
	v_mad_u64_u32 v[0:1], s[0:1], v7, s24, 0
	v_mad_u64_u32 v[2:3], s[0:1], v7, s7, 0
	v_add_co_u32_e32 v0, vcc, v8, v0
	v_addc_co_u32_e32 v0, vcc, v9, v1, vcc
	v_addc_co_u32_e32 v1, vcc, 0, v3, vcc
	v_add_co_u32_e32 v2, vcc, v0, v2
	v_addc_co_u32_e32 v3, vcc, 0, v1, vcc
	v_mul_lo_u32 v8, s13, v2
	v_mul_lo_u32 v9, s12, v3
	v_mad_u64_u32 v[0:1], s[0:1], s12, v2, 0
	v_add3_u32 v1, v1, v9, v8
	v_sub_u32_e32 v8, v7, v1
	v_mov_b32_e32 v9, s13
	v_sub_co_u32_e32 v0, vcc, v6, v0
	v_subb_co_u32_e64 v6, s[0:1], v8, v9, vcc
	v_subrev_co_u32_e64 v8, s[0:1], s12, v0
	v_subbrev_co_u32_e64 v6, s[0:1], 0, v6, s[0:1]
	v_cmp_le_u32_e64 s[0:1], s13, v6
	v_cndmask_b32_e64 v9, 0, -1, s[0:1]
	v_cmp_le_u32_e64 s[0:1], s12, v8
	v_cndmask_b32_e64 v8, 0, -1, s[0:1]
	v_cmp_eq_u32_e64 s[0:1], s13, v6
	v_cndmask_b32_e64 v6, v9, v8, s[0:1]
	v_add_co_u32_e64 v8, s[0:1], 2, v2
	v_subb_co_u32_e32 v1, vcc, v7, v1, vcc
	v_addc_co_u32_e64 v9, s[0:1], 0, v3, s[0:1]
	v_cmp_le_u32_e32 vcc, s13, v1
	v_add_co_u32_e64 v11, s[0:1], 1, v2
	v_cndmask_b32_e64 v7, 0, -1, vcc
	v_cmp_le_u32_e32 vcc, s12, v0
	v_addc_co_u32_e64 v12, s[0:1], 0, v3, s[0:1]
	v_cndmask_b32_e64 v0, 0, -1, vcc
	v_cmp_eq_u32_e32 vcc, s13, v1
	v_cmp_ne_u32_e64 s[0:1], 0, v6
	v_cndmask_b32_e32 v0, v7, v0, vcc
	v_cndmask_b32_e64 v6, v12, v9, s[0:1]
	v_cmp_ne_u32_e32 vcc, 0, v0
	v_cndmask_b32_e64 v1, v11, v8, s[0:1]
	v_cndmask_b32_e32 v0, v3, v6, vcc
	v_cndmask_b32_e32 v1, v2, v1, vcc
	v_xor_b32_e32 v2, s6, v10
	v_xor_b32_e32 v3, v0, v2
	;; [unrolled: 1-line block ×3, first 2 shown]
	v_sub_co_u32_e32 v0, vcc, v0, v2
	v_subb_co_u32_e32 v1, vcc, v3, v2, vcc
.LBB34_3:
	s_andn2_saveexec_b64 s[0:1], s[2:3]
	s_cbranch_execz .LBB34_5
; %bb.4:
	v_cvt_f32_u32_e32 v0, s18
	s_sub_i32 s2, 0, s18
	v_rcp_iflag_f32_e32 v0, v0
	v_mul_f32_e32 v0, 0x4f7ffffe, v0
	v_cvt_u32_f32_e32 v0, v0
	v_mul_lo_u32 v1, s2, v0
	v_mul_hi_u32 v1, v0, v1
	v_add_u32_e32 v0, v0, v1
	v_mul_hi_u32 v0, v4, v0
	v_mul_lo_u32 v1, v0, s18
	v_add_u32_e32 v2, 1, v0
	v_sub_u32_e32 v1, v4, v1
	v_subrev_u32_e32 v3, s18, v1
	v_cmp_le_u32_e32 vcc, s18, v1
	v_cndmask_b32_e32 v1, v1, v3, vcc
	v_cndmask_b32_e32 v0, v0, v2, vcc
	v_add_u32_e32 v2, 1, v0
	v_cmp_le_u32_e32 vcc, s18, v1
	v_cndmask_b32_e32 v0, v0, v2, vcc
	v_mov_b32_e32 v1, 0
.LBB34_5:
	s_or_b64 exec, exec, s[0:1]
	v_mul_lo_u32 v6, s19, v0
	v_mul_lo_u32 v7, s18, v1
	v_mad_u64_u32 v[2:3], s[0:1], s18, v0, 0
	v_add3_u32 v3, v3, v7, v6
	v_sub_co_u32_e32 v6, vcc, v4, v2
	v_subb_co_u32_e32 v7, vcc, v5, v3, vcc
	v_or_b32_e32 v3, s17, v7
	v_mov_b32_e32 v2, 0
	v_cmp_ne_u64_e32 vcc, 0, v[2:3]
                                        ; implicit-def: $vgpr2_vgpr3
	s_and_saveexec_b64 s[0:1], vcc
	s_xor_b64 s[2:3], exec, s[0:1]
	s_cbranch_execz .LBB34_7
; %bb.6:
	s_ashr_i32 s6, s17, 31
	s_add_u32 s0, s16, s6
	s_mov_b32 s7, s6
	s_addc_u32 s1, s17, s6
	s_xor_b64 s[12:13], s[0:1], s[6:7]
	v_cvt_f32_u32_e32 v2, s12
	v_cvt_f32_u32_e32 v3, s13
	s_sub_u32 s7, 0, s12
	s_subb_u32 s18, 0, s13
	v_ashrrev_i32_e32 v11, 31, v7
	v_madmk_f32 v2, v3, 0x4f800000, v2
	v_rcp_f32_e32 v2, v2
	v_mul_f32_e32 v2, 0x5f7ffffc, v2
	v_mul_f32_e32 v3, 0x2f800000, v2
	v_trunc_f32_e32 v3, v3
	v_madmk_f32 v2, v3, 0xcf800000, v2
	v_cvt_u32_f32_e32 v3, v3
	v_cvt_u32_f32_e32 v2, v2
	v_readfirstlane_b32 s19, v3
	v_readfirstlane_b32 s0, v2
	s_mul_i32 s1, s7, s19
	s_mul_hi_u32 s25, s7, s0
	s_mul_i32 s24, s18, s0
	s_add_i32 s1, s25, s1
	s_add_i32 s1, s1, s24
	s_mul_i32 s26, s7, s0
	s_mul_i32 s25, s0, s1
	s_mul_hi_u32 s27, s0, s26
	s_mul_hi_u32 s24, s0, s1
	s_add_u32 s25, s27, s25
	s_addc_u32 s24, 0, s24
	s_mul_hi_u32 s28, s19, s26
	s_mul_i32 s26, s19, s26
	s_add_u32 s25, s25, s26
	s_mul_hi_u32 s27, s19, s1
	s_addc_u32 s24, s24, s28
	s_addc_u32 s25, s27, 0
	s_mul_i32 s1, s19, s1
	s_add_u32 s1, s24, s1
	s_addc_u32 s24, 0, s25
	s_add_u32 s25, s0, s1
	s_cselect_b64 s[0:1], -1, 0
	s_cmp_lg_u64 s[0:1], 0
	s_addc_u32 s19, s19, s24
	s_mul_i32 s0, s7, s19
	s_mul_hi_u32 s1, s7, s25
	s_add_i32 s0, s1, s0
	s_mul_i32 s18, s18, s25
	s_add_i32 s0, s0, s18
	s_mul_i32 s7, s7, s25
	s_mul_hi_u32 s18, s19, s7
	s_mul_i32 s24, s19, s7
	s_mul_i32 s27, s25, s0
	s_mul_hi_u32 s7, s25, s7
	s_mul_hi_u32 s26, s25, s0
	s_add_u32 s7, s7, s27
	s_addc_u32 s26, 0, s26
	s_add_u32 s7, s7, s24
	s_mul_hi_u32 s1, s19, s0
	s_addc_u32 s7, s26, s18
	s_addc_u32 s1, s1, 0
	s_mul_i32 s0, s19, s0
	s_add_u32 s0, s7, s0
	s_addc_u32 s7, 0, s1
	s_add_u32 s18, s25, s0
	s_cselect_b64 s[0:1], -1, 0
	s_cmp_lg_u64 s[0:1], 0
	v_add_co_u32_e32 v2, vcc, v6, v11
	s_addc_u32 s7, s19, s7
	v_xor_b32_e32 v12, v2, v11
	v_mad_u64_u32 v[2:3], s[0:1], v12, s7, 0
	v_mul_hi_u32 v9, v12, s18
	v_addc_co_u32_e32 v8, vcc, v7, v11, vcc
	v_xor_b32_e32 v13, v8, v11
	v_add_co_u32_e32 v14, vcc, v9, v2
	v_addc_co_u32_e32 v15, vcc, 0, v3, vcc
	v_mad_u64_u32 v[2:3], s[0:1], v13, s18, 0
	v_mad_u64_u32 v[8:9], s[0:1], v13, s7, 0
	v_add_co_u32_e32 v2, vcc, v14, v2
	v_addc_co_u32_e32 v2, vcc, v15, v3, vcc
	v_addc_co_u32_e32 v3, vcc, 0, v9, vcc
	v_add_co_u32_e32 v8, vcc, v2, v8
	v_addc_co_u32_e32 v9, vcc, 0, v3, vcc
	v_mul_lo_u32 v14, s13, v8
	v_mul_lo_u32 v15, s12, v9
	v_mad_u64_u32 v[2:3], s[0:1], s12, v8, 0
	v_add3_u32 v3, v3, v15, v14
	v_sub_u32_e32 v14, v13, v3
	v_mov_b32_e32 v15, s13
	v_sub_co_u32_e32 v2, vcc, v12, v2
	v_subb_co_u32_e64 v12, s[0:1], v14, v15, vcc
	v_subrev_co_u32_e64 v14, s[0:1], s12, v2
	v_subbrev_co_u32_e64 v12, s[0:1], 0, v12, s[0:1]
	v_cmp_le_u32_e64 s[0:1], s13, v12
	v_cndmask_b32_e64 v15, 0, -1, s[0:1]
	v_cmp_le_u32_e64 s[0:1], s12, v14
	v_cndmask_b32_e64 v14, 0, -1, s[0:1]
	v_cmp_eq_u32_e64 s[0:1], s13, v12
	v_cndmask_b32_e64 v12, v15, v14, s[0:1]
	v_add_co_u32_e64 v14, s[0:1], 2, v8
	v_subb_co_u32_e32 v3, vcc, v13, v3, vcc
	v_addc_co_u32_e64 v15, s[0:1], 0, v9, s[0:1]
	v_cmp_le_u32_e32 vcc, s13, v3
	v_add_co_u32_e64 v16, s[0:1], 1, v8
	v_cndmask_b32_e64 v13, 0, -1, vcc
	v_cmp_le_u32_e32 vcc, s12, v2
	v_addc_co_u32_e64 v17, s[0:1], 0, v9, s[0:1]
	v_cndmask_b32_e64 v2, 0, -1, vcc
	v_cmp_eq_u32_e32 vcc, s13, v3
	v_cmp_ne_u32_e64 s[0:1], 0, v12
	v_cndmask_b32_e32 v2, v13, v2, vcc
	v_cndmask_b32_e64 v12, v17, v15, s[0:1]
	v_cmp_ne_u32_e32 vcc, 0, v2
	v_cndmask_b32_e64 v3, v16, v14, s[0:1]
	v_cndmask_b32_e32 v2, v9, v12, vcc
	v_cndmask_b32_e32 v3, v8, v3, vcc
	v_xor_b32_e32 v8, s6, v11
	v_xor_b32_e32 v9, v2, v8
	;; [unrolled: 1-line block ×3, first 2 shown]
	v_sub_co_u32_e32 v2, vcc, v2, v8
	v_subb_co_u32_e32 v3, vcc, v9, v8, vcc
.LBB34_7:
	s_andn2_saveexec_b64 s[0:1], s[2:3]
	s_cbranch_execz .LBB34_9
; %bb.8:
	v_cvt_f32_u32_e32 v2, s16
	s_sub_i32 s2, 0, s16
	v_rcp_iflag_f32_e32 v2, v2
	v_mul_f32_e32 v2, 0x4f7ffffe, v2
	v_cvt_u32_f32_e32 v2, v2
	v_mul_lo_u32 v3, s2, v2
	v_mul_hi_u32 v3, v2, v3
	v_add_u32_e32 v2, v2, v3
	v_mul_hi_u32 v2, v6, v2
	v_mul_lo_u32 v3, v2, s16
	v_add_u32_e32 v8, 1, v2
	v_sub_u32_e32 v3, v6, v3
	v_subrev_u32_e32 v9, s16, v3
	v_cmp_le_u32_e32 vcc, s16, v3
	v_cndmask_b32_e32 v3, v3, v9, vcc
	v_cndmask_b32_e32 v2, v2, v8, vcc
	v_add_u32_e32 v8, 1, v2
	v_cmp_le_u32_e32 vcc, s16, v3
	v_cndmask_b32_e32 v2, v2, v8, vcc
	v_mov_b32_e32 v3, 0
.LBB34_9:
	s_or_b64 exec, exec, s[0:1]
	v_mul_lo_u32 v11, s17, v2
	v_mul_lo_u32 v12, s16, v3
	v_mad_u64_u32 v[8:9], s[0:1], s16, v2, 0
	v_add3_u32 v9, v9, v12, v11
	v_sub_co_u32_e32 v12, vcc, v6, v8
	v_subb_co_u32_e32 v13, vcc, v7, v9, vcc
	v_or_b32_e32 v7, s15, v13
	v_mov_b32_e32 v6, 0
	v_cmp_ne_u64_e32 vcc, 0, v[6:7]
                                        ; implicit-def: $vgpr6_vgpr7
	s_and_saveexec_b64 s[0:1], vcc
	s_xor_b64 s[2:3], exec, s[0:1]
	s_cbranch_execz .LBB34_11
; %bb.10:
	s_ashr_i32 s6, s15, 31
	s_add_u32 s0, s14, s6
	s_mov_b32 s7, s6
	s_addc_u32 s1, s15, s6
	s_xor_b64 s[12:13], s[0:1], s[6:7]
	v_cvt_f32_u32_e32 v6, s12
	v_cvt_f32_u32_e32 v7, s13
	s_sub_u32 s7, 0, s12
	s_subb_u32 s16, 0, s13
	v_ashrrev_i32_e32 v11, 31, v13
	v_madmk_f32 v6, v7, 0x4f800000, v6
	v_rcp_f32_e32 v6, v6
	v_mul_f32_e32 v6, 0x5f7ffffc, v6
	v_mul_f32_e32 v7, 0x2f800000, v6
	v_trunc_f32_e32 v7, v7
	v_madmk_f32 v6, v7, 0xcf800000, v6
	v_cvt_u32_f32_e32 v7, v7
	v_cvt_u32_f32_e32 v6, v6
	v_readfirstlane_b32 s17, v7
	v_readfirstlane_b32 s0, v6
	s_mul_i32 s1, s7, s17
	s_mul_hi_u32 s19, s7, s0
	s_mul_i32 s18, s16, s0
	s_add_i32 s1, s19, s1
	s_add_i32 s1, s1, s18
	s_mul_i32 s24, s7, s0
	s_mul_i32 s19, s0, s1
	s_mul_hi_u32 s25, s0, s24
	s_mul_hi_u32 s18, s0, s1
	s_add_u32 s19, s25, s19
	s_addc_u32 s18, 0, s18
	s_mul_hi_u32 s26, s17, s24
	s_mul_i32 s24, s17, s24
	s_add_u32 s19, s19, s24
	s_mul_hi_u32 s25, s17, s1
	s_addc_u32 s18, s18, s26
	s_addc_u32 s19, s25, 0
	s_mul_i32 s1, s17, s1
	s_add_u32 s1, s18, s1
	s_addc_u32 s18, 0, s19
	s_add_u32 s19, s0, s1
	s_cselect_b64 s[0:1], -1, 0
	s_cmp_lg_u64 s[0:1], 0
	s_addc_u32 s17, s17, s18
	s_mul_i32 s0, s7, s17
	s_mul_hi_u32 s1, s7, s19
	s_add_i32 s0, s1, s0
	s_mul_i32 s16, s16, s19
	s_add_i32 s0, s0, s16
	s_mul_i32 s7, s7, s19
	s_mul_hi_u32 s16, s17, s7
	s_mul_i32 s18, s17, s7
	s_mul_i32 s25, s19, s0
	s_mul_hi_u32 s7, s19, s7
	s_mul_hi_u32 s24, s19, s0
	s_add_u32 s7, s7, s25
	s_addc_u32 s24, 0, s24
	s_add_u32 s7, s7, s18
	s_mul_hi_u32 s1, s17, s0
	s_addc_u32 s7, s24, s16
	s_addc_u32 s1, s1, 0
	s_mul_i32 s0, s17, s0
	s_add_u32 s0, s7, s0
	s_addc_u32 s7, 0, s1
	s_add_u32 s16, s19, s0
	s_cselect_b64 s[0:1], -1, 0
	s_cmp_lg_u64 s[0:1], 0
	v_add_co_u32_e32 v6, vcc, v12, v11
	s_addc_u32 s7, s17, s7
	v_xor_b32_e32 v14, v6, v11
	v_mad_u64_u32 v[6:7], s[0:1], v14, s7, 0
	v_mul_hi_u32 v9, v14, s16
	v_addc_co_u32_e32 v8, vcc, v13, v11, vcc
	v_xor_b32_e32 v15, v8, v11
	v_add_co_u32_e32 v16, vcc, v9, v6
	v_addc_co_u32_e32 v17, vcc, 0, v7, vcc
	v_mad_u64_u32 v[6:7], s[0:1], v15, s16, 0
	v_mad_u64_u32 v[8:9], s[0:1], v15, s7, 0
	v_add_co_u32_e32 v6, vcc, v16, v6
	v_addc_co_u32_e32 v6, vcc, v17, v7, vcc
	v_addc_co_u32_e32 v7, vcc, 0, v9, vcc
	v_add_co_u32_e32 v8, vcc, v6, v8
	v_addc_co_u32_e32 v9, vcc, 0, v7, vcc
	v_mul_lo_u32 v16, s13, v8
	v_mul_lo_u32 v17, s12, v9
	v_mad_u64_u32 v[6:7], s[0:1], s12, v8, 0
	v_add3_u32 v7, v7, v17, v16
	v_sub_u32_e32 v16, v15, v7
	v_mov_b32_e32 v17, s13
	v_sub_co_u32_e32 v6, vcc, v14, v6
	v_subb_co_u32_e64 v14, s[0:1], v16, v17, vcc
	v_subrev_co_u32_e64 v16, s[0:1], s12, v6
	v_subbrev_co_u32_e64 v14, s[0:1], 0, v14, s[0:1]
	v_cmp_le_u32_e64 s[0:1], s13, v14
	v_cndmask_b32_e64 v17, 0, -1, s[0:1]
	v_cmp_le_u32_e64 s[0:1], s12, v16
	v_cndmask_b32_e64 v16, 0, -1, s[0:1]
	v_cmp_eq_u32_e64 s[0:1], s13, v14
	v_cndmask_b32_e64 v14, v17, v16, s[0:1]
	v_add_co_u32_e64 v16, s[0:1], 2, v8
	v_subb_co_u32_e32 v7, vcc, v15, v7, vcc
	v_addc_co_u32_e64 v17, s[0:1], 0, v9, s[0:1]
	v_cmp_le_u32_e32 vcc, s13, v7
	v_add_co_u32_e64 v18, s[0:1], 1, v8
	v_cndmask_b32_e64 v15, 0, -1, vcc
	v_cmp_le_u32_e32 vcc, s12, v6
	v_addc_co_u32_e64 v19, s[0:1], 0, v9, s[0:1]
	v_cndmask_b32_e64 v6, 0, -1, vcc
	v_cmp_eq_u32_e32 vcc, s13, v7
	v_cmp_ne_u32_e64 s[0:1], 0, v14
	v_cndmask_b32_e32 v6, v15, v6, vcc
	v_cndmask_b32_e64 v14, v19, v17, s[0:1]
	v_cmp_ne_u32_e32 vcc, 0, v6
	v_cndmask_b32_e64 v7, v18, v16, s[0:1]
	v_cndmask_b32_e32 v6, v9, v14, vcc
	v_cndmask_b32_e32 v7, v8, v7, vcc
	v_xor_b32_e32 v8, s6, v11
	v_xor_b32_e32 v9, v6, v8
	;; [unrolled: 1-line block ×3, first 2 shown]
	v_sub_co_u32_e32 v6, vcc, v6, v8
	v_subb_co_u32_e32 v7, vcc, v9, v8, vcc
.LBB34_11:
	s_andn2_saveexec_b64 s[0:1], s[2:3]
	s_cbranch_execz .LBB34_13
; %bb.12:
	v_cvt_f32_u32_e32 v6, s14
	s_sub_i32 s2, 0, s14
	v_rcp_iflag_f32_e32 v6, v6
	v_mul_f32_e32 v6, 0x4f7ffffe, v6
	v_cvt_u32_f32_e32 v6, v6
	v_mul_lo_u32 v7, s2, v6
	v_mul_hi_u32 v7, v6, v7
	v_add_u32_e32 v6, v6, v7
	v_mul_hi_u32 v6, v12, v6
	v_mul_lo_u32 v7, v6, s14
	v_add_u32_e32 v8, 1, v6
	v_sub_u32_e32 v7, v12, v7
	v_subrev_u32_e32 v9, s14, v7
	v_cmp_le_u32_e32 vcc, s14, v7
	v_cndmask_b32_e32 v7, v7, v9, vcc
	v_cndmask_b32_e32 v6, v6, v8, vcc
	v_add_u32_e32 v8, 1, v6
	v_cmp_le_u32_e32 vcc, s14, v7
	v_cndmask_b32_e32 v6, v6, v8, vcc
	v_mov_b32_e32 v7, 0
.LBB34_13:
	s_or_b64 exec, exec, s[0:1]
	s_load_dwordx16 s[36:51], s[4:5], 0x40
	v_mov_b32_e32 v8, 0
	s_waitcnt lgkmcnt(0)
	s_mul_i32 s0, s42, s41
	s_mul_hi_u32 s1, s42, s40
	s_mul_i32 s2, s43, s40
	s_mul_i32 s16, s42, s40
	s_add_i32 s17, s1, s0
	s_mul_i32 s0, s16, s45
	s_add_i32 s17, s17, s2
	s_mul_hi_u32 s1, s16, s44
	s_add_i32 s0, s1, s0
	s_mul_i32 s1, s17, s44
	s_add_i32 s18, s0, s1
	v_or_b32_e32 v9, s18, v5
	v_cmp_ne_u64_e32 vcc, 0, v[8:9]
	s_mul_i32 s19, s16, s44
                                        ; implicit-def: $vgpr8_vgpr9
	s_and_saveexec_b64 s[0:1], vcc
	s_xor_b64 s[2:3], exec, s[0:1]
	s_cbranch_execz .LBB34_15
; %bb.14:
	s_ashr_i32 s6, s18, 31
	s_add_u32 s0, s19, s6
	s_mov_b32 s7, s6
	s_addc_u32 s1, s18, s6
	s_xor_b64 s[12:13], s[0:1], s[6:7]
	v_cvt_f32_u32_e32 v8, s12
	v_cvt_f32_u32_e32 v9, s13
	s_sub_u32 s7, 0, s12
	s_subb_u32 s24, 0, s13
	v_madmk_f32 v8, v9, 0x4f800000, v8
	v_rcp_f32_e32 v8, v8
	v_mul_f32_e32 v8, 0x5f7ffffc, v8
	v_mul_f32_e32 v9, 0x2f800000, v8
	v_trunc_f32_e32 v9, v9
	v_madmk_f32 v8, v9, 0xcf800000, v8
	v_cvt_u32_f32_e32 v9, v9
	v_cvt_u32_f32_e32 v8, v8
	v_readfirstlane_b32 s25, v9
	v_readfirstlane_b32 s0, v8
	s_mul_i32 s1, s7, s25
	s_mul_hi_u32 s27, s7, s0
	s_mul_i32 s26, s24, s0
	s_add_i32 s1, s27, s1
	s_add_i32 s1, s1, s26
	s_mul_i32 s28, s7, s0
	s_mul_i32 s27, s0, s1
	s_mul_hi_u32 s29, s0, s28
	s_mul_hi_u32 s26, s0, s1
	s_add_u32 s27, s29, s27
	s_addc_u32 s26, 0, s26
	s_mul_hi_u32 s30, s25, s28
	s_mul_i32 s28, s25, s28
	s_add_u32 s27, s27, s28
	s_mul_hi_u32 s29, s25, s1
	s_addc_u32 s26, s26, s30
	s_addc_u32 s27, s29, 0
	s_mul_i32 s1, s25, s1
	s_add_u32 s1, s26, s1
	s_addc_u32 s26, 0, s27
	s_add_u32 s27, s0, s1
	s_cselect_b64 s[0:1], -1, 0
	s_cmp_lg_u64 s[0:1], 0
	s_addc_u32 s25, s25, s26
	s_mul_i32 s0, s7, s25
	s_mul_hi_u32 s1, s7, s27
	s_add_i32 s0, s1, s0
	s_mul_i32 s24, s24, s27
	s_add_i32 s0, s0, s24
	s_mul_i32 s7, s7, s27
	s_mul_hi_u32 s24, s25, s7
	s_mul_i32 s26, s25, s7
	s_mul_i32 s29, s27, s0
	s_mul_hi_u32 s7, s27, s7
	s_mul_hi_u32 s28, s27, s0
	s_add_u32 s7, s7, s29
	s_addc_u32 s28, 0, s28
	s_add_u32 s7, s7, s26
	s_mul_hi_u32 s1, s25, s0
	s_addc_u32 s7, s28, s24
	s_addc_u32 s1, s1, 0
	s_mul_i32 s0, s25, s0
	s_add_u32 s0, s7, s0
	s_addc_u32 s7, 0, s1
	s_add_u32 s24, s27, s0
	s_cselect_b64 s[0:1], -1, 0
	s_cmp_lg_u64 s[0:1], 0
	v_add_co_u32_e32 v8, vcc, v4, v10
	s_addc_u32 s7, s25, s7
	v_xor_b32_e32 v16, v8, v10
	v_mad_u64_u32 v[8:9], s[0:1], v16, s7, 0
	v_mul_hi_u32 v14, v16, s24
	v_addc_co_u32_e32 v11, vcc, v5, v10, vcc
	v_xor_b32_e32 v11, v11, v10
	v_add_co_u32_e32 v17, vcc, v14, v8
	v_addc_co_u32_e32 v18, vcc, 0, v9, vcc
	v_mad_u64_u32 v[8:9], s[0:1], v11, s24, 0
	v_mad_u64_u32 v[14:15], s[0:1], v11, s7, 0
	v_add_co_u32_e32 v8, vcc, v17, v8
	v_addc_co_u32_e32 v8, vcc, v18, v9, vcc
	v_addc_co_u32_e32 v9, vcc, 0, v15, vcc
	v_add_co_u32_e32 v14, vcc, v8, v14
	v_addc_co_u32_e32 v15, vcc, 0, v9, vcc
	v_mul_lo_u32 v17, s13, v14
	v_mul_lo_u32 v18, s12, v15
	v_mad_u64_u32 v[8:9], s[0:1], s12, v14, 0
	v_xor_b32_e32 v10, s6, v10
	v_add3_u32 v9, v9, v18, v17
	v_sub_u32_e32 v17, v11, v9
	v_mov_b32_e32 v18, s13
	v_sub_co_u32_e32 v8, vcc, v16, v8
	v_subb_co_u32_e64 v16, s[0:1], v17, v18, vcc
	v_subrev_co_u32_e64 v17, s[0:1], s12, v8
	v_subbrev_co_u32_e64 v16, s[0:1], 0, v16, s[0:1]
	v_cmp_le_u32_e64 s[0:1], s13, v16
	v_cndmask_b32_e64 v18, 0, -1, s[0:1]
	v_cmp_le_u32_e64 s[0:1], s12, v17
	v_cndmask_b32_e64 v17, 0, -1, s[0:1]
	v_cmp_eq_u32_e64 s[0:1], s13, v16
	v_cndmask_b32_e64 v16, v18, v17, s[0:1]
	v_add_co_u32_e64 v17, s[0:1], 2, v14
	v_subb_co_u32_e32 v9, vcc, v11, v9, vcc
	v_addc_co_u32_e64 v18, s[0:1], 0, v15, s[0:1]
	v_cmp_le_u32_e32 vcc, s13, v9
	v_add_co_u32_e64 v19, s[0:1], 1, v14
	v_cndmask_b32_e64 v11, 0, -1, vcc
	v_cmp_le_u32_e32 vcc, s12, v8
	v_addc_co_u32_e64 v20, s[0:1], 0, v15, s[0:1]
	v_cndmask_b32_e64 v8, 0, -1, vcc
	v_cmp_eq_u32_e32 vcc, s13, v9
	v_cmp_ne_u32_e64 s[0:1], 0, v16
	v_cndmask_b32_e32 v8, v11, v8, vcc
	v_cndmask_b32_e64 v16, v20, v18, s[0:1]
	v_cmp_ne_u32_e32 vcc, 0, v8
	v_cndmask_b32_e64 v9, v19, v17, s[0:1]
	v_cndmask_b32_e32 v8, v15, v16, vcc
	v_cndmask_b32_e32 v9, v14, v9, vcc
	v_xor_b32_e32 v11, v8, v10
	v_xor_b32_e32 v8, v9, v10
	v_sub_co_u32_e32 v8, vcc, v8, v10
	v_subb_co_u32_e32 v9, vcc, v11, v10, vcc
.LBB34_15:
	s_andn2_saveexec_b64 s[0:1], s[2:3]
	s_cbranch_execz .LBB34_17
; %bb.16:
	v_cvt_f32_u32_e32 v8, s19
	s_sub_i32 s2, 0, s19
	v_rcp_iflag_f32_e32 v8, v8
	v_mul_f32_e32 v8, 0x4f7ffffe, v8
	v_cvt_u32_f32_e32 v8, v8
	v_mul_lo_u32 v9, s2, v8
	v_mul_hi_u32 v9, v8, v9
	v_add_u32_e32 v8, v8, v9
	v_mul_hi_u32 v8, v4, v8
	v_mul_lo_u32 v9, v8, s19
	v_add_u32_e32 v10, 1, v8
	v_sub_u32_e32 v9, v4, v9
	v_subrev_u32_e32 v11, s19, v9
	v_cmp_le_u32_e32 vcc, s19, v9
	v_cndmask_b32_e32 v9, v9, v11, vcc
	v_cndmask_b32_e32 v8, v8, v10, vcc
	v_add_u32_e32 v10, 1, v8
	v_cmp_le_u32_e32 vcc, s19, v9
	v_cndmask_b32_e32 v8, v8, v10, vcc
	v_mov_b32_e32 v9, 0
.LBB34_17:
	s_or_b64 exec, exec, s[0:1]
	v_mul_lo_u32 v14, s18, v8
	v_mul_lo_u32 v15, s19, v9
	v_mad_u64_u32 v[10:11], s[0:1], s19, v8, 0
	v_add3_u32 v11, v11, v15, v14
	v_sub_co_u32_e32 v10, vcc, v4, v10
	v_subb_co_u32_e32 v11, vcc, v5, v11, vcc
	v_or_b32_e32 v5, s17, v11
	v_mov_b32_e32 v4, 0
	v_cmp_ne_u64_e32 vcc, 0, v[4:5]
                                        ; implicit-def: $vgpr4_vgpr5
	s_and_saveexec_b64 s[0:1], vcc
	s_xor_b64 s[2:3], exec, s[0:1]
	s_cbranch_execz .LBB34_19
; %bb.18:
	s_ashr_i32 s6, s17, 31
	s_add_u32 s0, s16, s6
	s_mov_b32 s7, s6
	s_addc_u32 s1, s17, s6
	s_xor_b64 s[12:13], s[0:1], s[6:7]
	v_cvt_f32_u32_e32 v4, s12
	v_cvt_f32_u32_e32 v5, s13
	s_sub_u32 s7, 0, s12
	s_subb_u32 s18, 0, s13
	v_ashrrev_i32_e32 v16, 31, v11
	v_madmk_f32 v4, v5, 0x4f800000, v4
	v_rcp_f32_e32 v4, v4
	v_mul_f32_e32 v4, 0x5f7ffffc, v4
	v_mul_f32_e32 v5, 0x2f800000, v4
	v_trunc_f32_e32 v5, v5
	v_madmk_f32 v4, v5, 0xcf800000, v4
	v_cvt_u32_f32_e32 v5, v5
	v_cvt_u32_f32_e32 v4, v4
	v_readfirstlane_b32 s19, v5
	v_readfirstlane_b32 s0, v4
	s_mul_i32 s1, s7, s19
	s_mul_hi_u32 s25, s7, s0
	s_mul_i32 s24, s18, s0
	s_add_i32 s1, s25, s1
	s_add_i32 s1, s1, s24
	s_mul_i32 s26, s7, s0
	s_mul_i32 s25, s0, s1
	s_mul_hi_u32 s27, s0, s26
	s_mul_hi_u32 s24, s0, s1
	s_add_u32 s25, s27, s25
	s_addc_u32 s24, 0, s24
	s_mul_hi_u32 s28, s19, s26
	s_mul_i32 s26, s19, s26
	s_add_u32 s25, s25, s26
	s_mul_hi_u32 s27, s19, s1
	s_addc_u32 s24, s24, s28
	s_addc_u32 s25, s27, 0
	s_mul_i32 s1, s19, s1
	s_add_u32 s1, s24, s1
	s_addc_u32 s24, 0, s25
	s_add_u32 s25, s0, s1
	s_cselect_b64 s[0:1], -1, 0
	s_cmp_lg_u64 s[0:1], 0
	s_addc_u32 s19, s19, s24
	s_mul_i32 s0, s7, s19
	s_mul_hi_u32 s1, s7, s25
	s_add_i32 s0, s1, s0
	s_mul_i32 s18, s18, s25
	s_add_i32 s0, s0, s18
	s_mul_i32 s7, s7, s25
	s_mul_hi_u32 s18, s19, s7
	s_mul_i32 s24, s19, s7
	s_mul_i32 s27, s25, s0
	s_mul_hi_u32 s7, s25, s7
	s_mul_hi_u32 s26, s25, s0
	s_add_u32 s7, s7, s27
	s_addc_u32 s26, 0, s26
	s_add_u32 s7, s7, s24
	s_mul_hi_u32 s1, s19, s0
	s_addc_u32 s7, s26, s18
	s_addc_u32 s1, s1, 0
	s_mul_i32 s0, s19, s0
	s_add_u32 s0, s7, s0
	s_addc_u32 s7, 0, s1
	s_add_u32 s18, s25, s0
	s_cselect_b64 s[0:1], -1, 0
	s_cmp_lg_u64 s[0:1], 0
	v_add_co_u32_e32 v4, vcc, v10, v16
	s_addc_u32 s7, s19, s7
	v_xor_b32_e32 v17, v4, v16
	v_mad_u64_u32 v[4:5], s[0:1], v17, s7, 0
	v_mul_hi_u32 v15, v17, s18
	v_addc_co_u32_e32 v14, vcc, v11, v16, vcc
	v_xor_b32_e32 v18, v14, v16
	v_add_co_u32_e32 v19, vcc, v15, v4
	v_addc_co_u32_e32 v20, vcc, 0, v5, vcc
	v_mad_u64_u32 v[4:5], s[0:1], v18, s18, 0
	v_mad_u64_u32 v[14:15], s[0:1], v18, s7, 0
	v_add_co_u32_e32 v4, vcc, v19, v4
	v_addc_co_u32_e32 v4, vcc, v20, v5, vcc
	v_addc_co_u32_e32 v5, vcc, 0, v15, vcc
	v_add_co_u32_e32 v14, vcc, v4, v14
	v_addc_co_u32_e32 v15, vcc, 0, v5, vcc
	v_mul_lo_u32 v19, s13, v14
	v_mul_lo_u32 v20, s12, v15
	v_mad_u64_u32 v[4:5], s[0:1], s12, v14, 0
	v_add3_u32 v5, v5, v20, v19
	v_sub_u32_e32 v19, v18, v5
	v_mov_b32_e32 v20, s13
	v_sub_co_u32_e32 v4, vcc, v17, v4
	v_subb_co_u32_e64 v17, s[0:1], v19, v20, vcc
	v_subrev_co_u32_e64 v19, s[0:1], s12, v4
	v_subbrev_co_u32_e64 v17, s[0:1], 0, v17, s[0:1]
	v_cmp_le_u32_e64 s[0:1], s13, v17
	v_cndmask_b32_e64 v20, 0, -1, s[0:1]
	v_cmp_le_u32_e64 s[0:1], s12, v19
	v_cndmask_b32_e64 v19, 0, -1, s[0:1]
	v_cmp_eq_u32_e64 s[0:1], s13, v17
	v_cndmask_b32_e64 v17, v20, v19, s[0:1]
	v_add_co_u32_e64 v19, s[0:1], 2, v14
	v_subb_co_u32_e32 v5, vcc, v18, v5, vcc
	v_addc_co_u32_e64 v20, s[0:1], 0, v15, s[0:1]
	v_cmp_le_u32_e32 vcc, s13, v5
	v_add_co_u32_e64 v21, s[0:1], 1, v14
	v_cndmask_b32_e64 v18, 0, -1, vcc
	v_cmp_le_u32_e32 vcc, s12, v4
	v_addc_co_u32_e64 v22, s[0:1], 0, v15, s[0:1]
	v_cndmask_b32_e64 v4, 0, -1, vcc
	v_cmp_eq_u32_e32 vcc, s13, v5
	v_cmp_ne_u32_e64 s[0:1], 0, v17
	v_cndmask_b32_e32 v4, v18, v4, vcc
	v_cndmask_b32_e64 v17, v22, v20, s[0:1]
	v_cmp_ne_u32_e32 vcc, 0, v4
	v_cndmask_b32_e64 v5, v21, v19, s[0:1]
	v_cndmask_b32_e32 v4, v15, v17, vcc
	v_cndmask_b32_e32 v5, v14, v5, vcc
	v_xor_b32_e32 v14, s6, v16
	v_xor_b32_e32 v15, v4, v14
	v_xor_b32_e32 v4, v5, v14
	v_sub_co_u32_e32 v4, vcc, v4, v14
	v_subb_co_u32_e32 v5, vcc, v15, v14, vcc
.LBB34_19:
	s_andn2_saveexec_b64 s[0:1], s[2:3]
	s_cbranch_execz .LBB34_21
; %bb.20:
	v_cvt_f32_u32_e32 v4, s16
	s_sub_i32 s2, 0, s16
	v_rcp_iflag_f32_e32 v4, v4
	v_mul_f32_e32 v4, 0x4f7ffffe, v4
	v_cvt_u32_f32_e32 v4, v4
	v_mul_lo_u32 v5, s2, v4
	v_mul_hi_u32 v5, v4, v5
	v_add_u32_e32 v4, v4, v5
	v_mul_hi_u32 v4, v10, v4
	v_mul_lo_u32 v5, v4, s16
	v_add_u32_e32 v14, 1, v4
	v_sub_u32_e32 v5, v10, v5
	v_subrev_u32_e32 v15, s16, v5
	v_cmp_le_u32_e32 vcc, s16, v5
	v_cndmask_b32_e32 v5, v5, v15, vcc
	v_cndmask_b32_e32 v4, v4, v14, vcc
	v_add_u32_e32 v14, 1, v4
	v_cmp_le_u32_e32 vcc, s16, v5
	v_cndmask_b32_e32 v4, v4, v14, vcc
	v_mov_b32_e32 v5, 0
.LBB34_21:
	s_or_b64 exec, exec, s[0:1]
	v_mul_lo_u32 v16, s17, v4
	v_mul_lo_u32 v17, s16, v5
	v_mad_u64_u32 v[14:15], s[0:1], s16, v4, 0
	v_add3_u32 v15, v15, v17, v16
	v_sub_co_u32_e32 v14, vcc, v10, v14
	v_subb_co_u32_e32 v15, vcc, v11, v15, vcc
	v_or_b32_e32 v11, s41, v15
	v_mov_b32_e32 v10, 0
	v_cmp_ne_u64_e32 vcc, 0, v[10:11]
                                        ; implicit-def: $vgpr10_vgpr11
	s_and_saveexec_b64 s[0:1], vcc
	s_xor_b64 s[2:3], exec, s[0:1]
	s_cbranch_execz .LBB34_23
; %bb.22:
	s_ashr_i32 s6, s41, 31
	s_add_u32 s0, s40, s6
	s_mov_b32 s7, s6
	s_addc_u32 s1, s41, s6
	s_xor_b64 s[12:13], s[0:1], s[6:7]
	v_cvt_f32_u32_e32 v10, s12
	v_cvt_f32_u32_e32 v11, s13
	s_sub_u32 s7, 0, s12
	s_subb_u32 s16, 0, s13
	v_ashrrev_i32_e32 v18, 31, v15
	v_madmk_f32 v10, v11, 0x4f800000, v10
	v_rcp_f32_e32 v10, v10
	v_mul_f32_e32 v10, 0x5f7ffffc, v10
	v_mul_f32_e32 v11, 0x2f800000, v10
	v_trunc_f32_e32 v11, v11
	v_madmk_f32 v10, v11, 0xcf800000, v10
	v_cvt_u32_f32_e32 v11, v11
	v_cvt_u32_f32_e32 v10, v10
	v_readfirstlane_b32 s17, v11
	v_readfirstlane_b32 s0, v10
	s_mul_i32 s1, s7, s17
	s_mul_hi_u32 s19, s7, s0
	s_mul_i32 s18, s16, s0
	s_add_i32 s1, s19, s1
	s_add_i32 s1, s1, s18
	s_mul_i32 s24, s7, s0
	s_mul_i32 s19, s0, s1
	s_mul_hi_u32 s25, s0, s24
	s_mul_hi_u32 s18, s0, s1
	s_add_u32 s19, s25, s19
	s_addc_u32 s18, 0, s18
	s_mul_hi_u32 s26, s17, s24
	s_mul_i32 s24, s17, s24
	s_add_u32 s19, s19, s24
	s_mul_hi_u32 s25, s17, s1
	s_addc_u32 s18, s18, s26
	s_addc_u32 s19, s25, 0
	s_mul_i32 s1, s17, s1
	s_add_u32 s1, s18, s1
	s_addc_u32 s18, 0, s19
	s_add_u32 s19, s0, s1
	s_cselect_b64 s[0:1], -1, 0
	s_cmp_lg_u64 s[0:1], 0
	s_addc_u32 s17, s17, s18
	s_mul_i32 s0, s7, s17
	s_mul_hi_u32 s1, s7, s19
	s_add_i32 s0, s1, s0
	s_mul_i32 s16, s16, s19
	s_add_i32 s0, s0, s16
	s_mul_i32 s7, s7, s19
	s_mul_hi_u32 s16, s17, s7
	s_mul_i32 s18, s17, s7
	s_mul_i32 s25, s19, s0
	s_mul_hi_u32 s7, s19, s7
	s_mul_hi_u32 s24, s19, s0
	s_add_u32 s7, s7, s25
	s_addc_u32 s24, 0, s24
	s_add_u32 s7, s7, s18
	s_mul_hi_u32 s1, s17, s0
	s_addc_u32 s7, s24, s16
	s_addc_u32 s1, s1, 0
	s_mul_i32 s0, s17, s0
	s_add_u32 s0, s7, s0
	s_addc_u32 s7, 0, s1
	s_add_u32 s16, s19, s0
	s_cselect_b64 s[0:1], -1, 0
	s_cmp_lg_u64 s[0:1], 0
	v_add_co_u32_e32 v10, vcc, v14, v18
	s_addc_u32 s7, s17, s7
	v_xor_b32_e32 v19, v10, v18
	v_mad_u64_u32 v[10:11], s[0:1], v19, s7, 0
	v_mul_hi_u32 v17, v19, s16
	v_addc_co_u32_e32 v16, vcc, v15, v18, vcc
	v_xor_b32_e32 v20, v16, v18
	v_add_co_u32_e32 v21, vcc, v17, v10
	v_addc_co_u32_e32 v22, vcc, 0, v11, vcc
	v_mad_u64_u32 v[10:11], s[0:1], v20, s16, 0
	v_mad_u64_u32 v[16:17], s[0:1], v20, s7, 0
	v_add_co_u32_e32 v10, vcc, v21, v10
	v_addc_co_u32_e32 v10, vcc, v22, v11, vcc
	v_addc_co_u32_e32 v11, vcc, 0, v17, vcc
	v_add_co_u32_e32 v16, vcc, v10, v16
	v_addc_co_u32_e32 v17, vcc, 0, v11, vcc
	v_mul_lo_u32 v21, s13, v16
	v_mul_lo_u32 v22, s12, v17
	v_mad_u64_u32 v[10:11], s[0:1], s12, v16, 0
	v_add3_u32 v11, v11, v22, v21
	v_sub_u32_e32 v21, v20, v11
	v_mov_b32_e32 v22, s13
	v_sub_co_u32_e32 v10, vcc, v19, v10
	v_subb_co_u32_e64 v19, s[0:1], v21, v22, vcc
	v_subrev_co_u32_e64 v21, s[0:1], s12, v10
	v_subbrev_co_u32_e64 v19, s[0:1], 0, v19, s[0:1]
	v_cmp_le_u32_e64 s[0:1], s13, v19
	v_cndmask_b32_e64 v22, 0, -1, s[0:1]
	v_cmp_le_u32_e64 s[0:1], s12, v21
	v_cndmask_b32_e64 v21, 0, -1, s[0:1]
	v_cmp_eq_u32_e64 s[0:1], s13, v19
	v_cndmask_b32_e64 v19, v22, v21, s[0:1]
	v_add_co_u32_e64 v21, s[0:1], 2, v16
	v_subb_co_u32_e32 v11, vcc, v20, v11, vcc
	v_addc_co_u32_e64 v22, s[0:1], 0, v17, s[0:1]
	v_cmp_le_u32_e32 vcc, s13, v11
	v_add_co_u32_e64 v23, s[0:1], 1, v16
	v_cndmask_b32_e64 v20, 0, -1, vcc
	v_cmp_le_u32_e32 vcc, s12, v10
	v_addc_co_u32_e64 v24, s[0:1], 0, v17, s[0:1]
	v_cndmask_b32_e64 v10, 0, -1, vcc
	v_cmp_eq_u32_e32 vcc, s13, v11
	v_cmp_ne_u32_e64 s[0:1], 0, v19
	v_cndmask_b32_e32 v10, v20, v10, vcc
	v_cndmask_b32_e64 v19, v24, v22, s[0:1]
	v_cmp_ne_u32_e32 vcc, 0, v10
	v_cndmask_b32_e64 v11, v23, v21, s[0:1]
	v_cndmask_b32_e32 v10, v17, v19, vcc
	v_cndmask_b32_e32 v11, v16, v11, vcc
	v_xor_b32_e32 v16, s6, v18
	v_xor_b32_e32 v17, v10, v16
	;; [unrolled: 1-line block ×3, first 2 shown]
	v_sub_co_u32_e32 v10, vcc, v10, v16
	v_subb_co_u32_e32 v11, vcc, v17, v16, vcc
.LBB34_23:
	s_andn2_saveexec_b64 s[0:1], s[2:3]
	s_cbranch_execz .LBB34_25
; %bb.24:
	v_cvt_f32_u32_e32 v10, s40
	s_sub_i32 s2, 0, s40
	v_rcp_iflag_f32_e32 v10, v10
	v_mul_f32_e32 v10, 0x4f7ffffe, v10
	v_cvt_u32_f32_e32 v10, v10
	v_mul_lo_u32 v11, s2, v10
	v_mul_hi_u32 v11, v10, v11
	v_add_u32_e32 v10, v10, v11
	v_mul_hi_u32 v10, v14, v10
	v_mul_lo_u32 v11, v10, s40
	v_add_u32_e32 v16, 1, v10
	v_sub_u32_e32 v11, v14, v11
	v_subrev_u32_e32 v17, s40, v11
	v_cmp_le_u32_e32 vcc, s40, v11
	v_cndmask_b32_e32 v11, v11, v17, vcc
	v_cndmask_b32_e32 v10, v10, v16, vcc
	v_add_u32_e32 v16, 1, v10
	v_cmp_le_u32_e32 vcc, s40, v11
	v_cndmask_b32_e32 v10, v10, v16, vcc
	v_mov_b32_e32 v11, 0
.LBB34_25:
	s_or_b64 exec, exec, s[0:1]
	v_mul_lo_u32 v18, v7, s14
	v_mul_lo_u32 v19, v6, s15
	v_mad_u64_u32 v[16:17], s[0:1], v6, s14, 0
	v_mul_lo_u32 v7, v7, s22
	v_mul_lo_u32 v3, v3, s36
	v_add3_u32 v17, v17, v19, v18
	v_sub_co_u32_e32 v16, vcc, v12, v16
	v_subb_co_u32_e32 v17, vcc, v13, v17, vcc
	v_mov_b32_e32 v12, s8
	v_mov_b32_e32 v13, s9
	v_mul_lo_u32 v18, v16, s21
	v_mul_lo_u32 v17, v17, s20
	v_mad_u64_u32 v[12:13], s[0:1], v16, s20, v[12:13]
	v_mul_lo_u32 v1, v1, s38
	v_add3_u32 v13, v17, v13, v18
	v_mad_u64_u32 v[12:13], s[0:1], v6, s22, v[12:13]
	v_mul_lo_u32 v6, v6, s23
	v_add3_u32 v13, v7, v13, v6
	v_mad_u64_u32 v[6:7], s[0:1], v2, s36, v[12:13]
	v_mul_lo_u32 v2, v2, s37
	v_mul_lo_u32 v12, v10, s41
	v_add3_u32 v7, v3, v7, v2
	v_mad_u64_u32 v[2:3], s[0:1], v0, s38, v[6:7]
	v_mul_lo_u32 v0, v0, s39
	v_mul_lo_u32 v7, v11, s40
	v_add3_u32 v3, v1, v3, v0
	global_load_dword v6, v[2:3], off
	v_mad_u64_u32 v[0:1], s[0:1], v10, s40, 0
	v_mov_b32_e32 v2, s10
	v_mov_b32_e32 v3, s11
	v_add3_u32 v1, v1, v12, v7
	v_sub_co_u32_e32 v0, vcc, v14, v0
	v_subb_co_u32_e32 v1, vcc, v15, v1, vcc
	v_mul_lo_u32 v7, v0, s47
	v_mul_lo_u32 v12, v1, s46
	v_mad_u64_u32 v[0:1], s[0:1], v0, s46, v[2:3]
	v_mul_lo_u32 v2, v10, s49
	v_mul_lo_u32 v3, v11, s48
	v_add3_u32 v1, v12, v1, v7
	v_mad_u64_u32 v[0:1], s[0:1], v10, s48, v[0:1]
	v_add3_u32 v1, v3, v1, v2
	v_mad_u64_u32 v[0:1], s[0:1], v4, s50, v[0:1]
	v_mul_lo_u32 v2, v4, s51
	v_mul_lo_u32 v3, v5, s50
	s_load_dwordx2 s[0:1], s[4:5], 0x80
	v_add3_u32 v1, v3, v1, v2
	s_waitcnt lgkmcnt(0)
	v_mad_u64_u32 v[0:1], s[2:3], v8, s0, v[0:1]
	v_mul_lo_u32 v2, v8, s1
	v_mul_lo_u32 v3, v9, s0
	v_add3_u32 v1, v3, v1, v2
	s_waitcnt vmcnt(0)
	v_cvt_f32_i32_e32 v4, v6
	global_store_dword v[0:1], v4, off
.LBB34_26:
	s_endpgm
	.section	.rodata,"a",@progbits
	.p2align	6, 0x0
	.amdhsa_kernel _ZL10cpy_scalarIXadL_ZL12cpy_1_scalarIifEvPKcPcEEEvS2_S3_lllllllllllllll
		.amdhsa_group_segment_fixed_size 0
		.amdhsa_private_segment_fixed_size 0
		.amdhsa_kernarg_size 392
		.amdhsa_user_sgpr_count 6
		.amdhsa_user_sgpr_private_segment_buffer 1
		.amdhsa_user_sgpr_dispatch_ptr 0
		.amdhsa_user_sgpr_queue_ptr 0
		.amdhsa_user_sgpr_kernarg_segment_ptr 1
		.amdhsa_user_sgpr_dispatch_id 0
		.amdhsa_user_sgpr_flat_scratch_init 0
		.amdhsa_user_sgpr_private_segment_size 0
		.amdhsa_uses_dynamic_stack 0
		.amdhsa_system_sgpr_private_segment_wavefront_offset 0
		.amdhsa_system_sgpr_workgroup_id_x 1
		.amdhsa_system_sgpr_workgroup_id_y 0
		.amdhsa_system_sgpr_workgroup_id_z 0
		.amdhsa_system_sgpr_workgroup_info 0
		.amdhsa_system_vgpr_workitem_id 0
		.amdhsa_next_free_vgpr 25
		.amdhsa_next_free_sgpr 52
		.amdhsa_reserve_vcc 1
		.amdhsa_reserve_flat_scratch 0
		.amdhsa_float_round_mode_32 0
		.amdhsa_float_round_mode_16_64 0
		.amdhsa_float_denorm_mode_32 3
		.amdhsa_float_denorm_mode_16_64 3
		.amdhsa_dx10_clamp 1
		.amdhsa_ieee_mode 1
		.amdhsa_fp16_overflow 0
		.amdhsa_exception_fp_ieee_invalid_op 0
		.amdhsa_exception_fp_denorm_src 0
		.amdhsa_exception_fp_ieee_div_zero 0
		.amdhsa_exception_fp_ieee_overflow 0
		.amdhsa_exception_fp_ieee_underflow 0
		.amdhsa_exception_fp_ieee_inexact 0
		.amdhsa_exception_int_div_zero 0
	.end_amdhsa_kernel
	.section	.text._ZL10cpy_scalarIXadL_ZL12cpy_1_scalarIifEvPKcPcEEEvS2_S3_lllllllllllllll,"axG",@progbits,_ZL10cpy_scalarIXadL_ZL12cpy_1_scalarIifEvPKcPcEEEvS2_S3_lllllllllllllll,comdat
.Lfunc_end34:
	.size	_ZL10cpy_scalarIXadL_ZL12cpy_1_scalarIifEvPKcPcEEEvS2_S3_lllllllllllllll, .Lfunc_end34-_ZL10cpy_scalarIXadL_ZL12cpy_1_scalarIifEvPKcPcEEEvS2_S3_lllllllllllllll
                                        ; -- End function
	.set _ZL10cpy_scalarIXadL_ZL12cpy_1_scalarIifEvPKcPcEEEvS2_S3_lllllllllllllll.num_vgpr, 25
	.set _ZL10cpy_scalarIXadL_ZL12cpy_1_scalarIifEvPKcPcEEEvS2_S3_lllllllllllllll.num_agpr, 0
	.set _ZL10cpy_scalarIXadL_ZL12cpy_1_scalarIifEvPKcPcEEEvS2_S3_lllllllllllllll.numbered_sgpr, 52
	.set _ZL10cpy_scalarIXadL_ZL12cpy_1_scalarIifEvPKcPcEEEvS2_S3_lllllllllllllll.num_named_barrier, 0
	.set _ZL10cpy_scalarIXadL_ZL12cpy_1_scalarIifEvPKcPcEEEvS2_S3_lllllllllllllll.private_seg_size, 0
	.set _ZL10cpy_scalarIXadL_ZL12cpy_1_scalarIifEvPKcPcEEEvS2_S3_lllllllllllllll.uses_vcc, 1
	.set _ZL10cpy_scalarIXadL_ZL12cpy_1_scalarIifEvPKcPcEEEvS2_S3_lllllllllllllll.uses_flat_scratch, 0
	.set _ZL10cpy_scalarIXadL_ZL12cpy_1_scalarIifEvPKcPcEEEvS2_S3_lllllllllllllll.has_dyn_sized_stack, 0
	.set _ZL10cpy_scalarIXadL_ZL12cpy_1_scalarIifEvPKcPcEEEvS2_S3_lllllllllllllll.has_recursion, 0
	.set _ZL10cpy_scalarIXadL_ZL12cpy_1_scalarIifEvPKcPcEEEvS2_S3_lllllllllllllll.has_indirect_call, 0
	.section	.AMDGPU.csdata,"",@progbits
; Kernel info:
; codeLenInByte = 5200
; TotalNumSgprs: 56
; NumVgprs: 25
; ScratchSize: 0
; MemoryBound: 0
; FloatMode: 240
; IeeeMode: 1
; LDSByteSize: 0 bytes/workgroup (compile time only)
; SGPRBlocks: 6
; VGPRBlocks: 6
; NumSGPRsForWavesPerEU: 56
; NumVGPRsForWavesPerEU: 25
; Occupancy: 9
; WaveLimiterHint : 0
; COMPUTE_PGM_RSRC2:SCRATCH_EN: 0
; COMPUTE_PGM_RSRC2:USER_SGPR: 6
; COMPUTE_PGM_RSRC2:TRAP_HANDLER: 0
; COMPUTE_PGM_RSRC2:TGID_X_EN: 1
; COMPUTE_PGM_RSRC2:TGID_Y_EN: 0
; COMPUTE_PGM_RSRC2:TGID_Z_EN: 0
; COMPUTE_PGM_RSRC2:TIDIG_COMP_CNT: 0
	.section	.AMDGPU.gpr_maximums,"",@progbits
	.set amdgpu.max_num_vgpr, 0
	.set amdgpu.max_num_agpr, 0
	.set amdgpu.max_num_sgpr, 0
	.section	.AMDGPU.csdata,"",@progbits
	.type	_ZL13kvalues_iq4nl,@object      ; @_ZL13kvalues_iq4nl
	.section	.rodata.cst16,"aM",@progbits,16
	.p2align	4, 0x0
_ZL13kvalues_iq4nl:
	.ascii	"\201\230\255\277\317\335\352\366\001\r\031&5EYq"
	.size	_ZL13kvalues_iq4nl, 16

	.type	__hip_cuid_711b4322563a8626,@object ; @__hip_cuid_711b4322563a8626
	.section	.bss,"aw",@nobits
	.globl	__hip_cuid_711b4322563a8626
__hip_cuid_711b4322563a8626:
	.byte	0                               ; 0x0
	.size	__hip_cuid_711b4322563a8626, 1

	.ident	"AMD clang version 22.0.0git (https://github.com/RadeonOpenCompute/llvm-project roc-7.2.4 26084 f58b06dce1f9c15707c5f808fd002e18c2accf7e)"
	.section	".note.GNU-stack","",@progbits
	.addrsig
	.addrsig_sym __hip_cuid_711b4322563a8626
	.amdgpu_metadata
---
amdhsa.kernels:
  - .args:
      - .address_space:  global
        .offset:         0
        .size:           8
        .value_kind:     global_buffer
      - .address_space:  global
        .offset:         8
        .size:           8
        .value_kind:     global_buffer
      - .offset:         16
        .size:           8
        .value_kind:     by_value
      - .offset:         24
        .size:           8
        .value_kind:     by_value
      - .offset:         32
        .size:           8
        .value_kind:     by_value
      - .offset:         40
        .size:           8
        .value_kind:     by_value
      - .offset:         48
        .size:           8
        .value_kind:     by_value
      - .offset:         56
        .size:           8
        .value_kind:     by_value
      - .offset:         64
        .size:           8
        .value_kind:     by_value
      - .offset:         72
        .size:           8
        .value_kind:     by_value
      - .offset:         80
        .size:           8
        .value_kind:     by_value
      - .offset:         88
        .size:           8
        .value_kind:     by_value
      - .offset:         96
        .size:           8
        .value_kind:     by_value
      - .offset:         104
        .size:           8
        .value_kind:     by_value
      - .offset:         112
        .size:           8
        .value_kind:     by_value
      - .offset:         120
        .size:           8
        .value_kind:     by_value
      - .offset:         128
        .size:           8
        .value_kind:     by_value
      - .offset:         136
        .size:           4
        .value_kind:     hidden_block_count_x
      - .offset:         140
        .size:           4
        .value_kind:     hidden_block_count_y
      - .offset:         144
        .size:           4
        .value_kind:     hidden_block_count_z
      - .offset:         148
        .size:           2
        .value_kind:     hidden_group_size_x
      - .offset:         150
        .size:           2
        .value_kind:     hidden_group_size_y
      - .offset:         152
        .size:           2
        .value_kind:     hidden_group_size_z
      - .offset:         154
        .size:           2
        .value_kind:     hidden_remainder_x
      - .offset:         156
        .size:           2
        .value_kind:     hidden_remainder_y
      - .offset:         158
        .size:           2
        .value_kind:     hidden_remainder_z
      - .offset:         176
        .size:           8
        .value_kind:     hidden_global_offset_x
      - .offset:         184
        .size:           8
        .value_kind:     hidden_global_offset_y
      - .offset:         192
        .size:           8
        .value_kind:     hidden_global_offset_z
      - .offset:         200
        .size:           2
        .value_kind:     hidden_grid_dims
    .group_segment_fixed_size: 0
    .kernarg_segment_align: 8
    .kernarg_segment_size: 392
    .language:       OpenCL C
    .language_version:
      - 2
      - 0
    .max_flat_workgroup_size: 1024
    .name:           _ZL9cpy_f32_qIXadL_ZL17cpy_blck_f32_q8_0PKcPcEELi32EEvS1_S2_lllllllllllllll
    .private_segment_fixed_size: 0
    .sgpr_count:     56
    .sgpr_spill_count: 0
    .symbol:         _ZL9cpy_f32_qIXadL_ZL17cpy_blck_f32_q8_0PKcPcEELi32EEvS1_S2_lllllllllllllll.kd
    .uniform_work_group_size: 1
    .uses_dynamic_stack: false
    .vgpr_count:     40
    .vgpr_spill_count: 0
    .wavefront_size: 64
  - .args:
      - .address_space:  global
        .offset:         0
        .size:           8
        .value_kind:     global_buffer
      - .address_space:  global
        .offset:         8
        .size:           8
        .value_kind:     global_buffer
      - .offset:         16
        .size:           8
        .value_kind:     by_value
      - .offset:         24
        .size:           8
        .value_kind:     by_value
      - .offset:         32
        .size:           8
        .value_kind:     by_value
      - .offset:         40
        .size:           8
        .value_kind:     by_value
      - .offset:         48
        .size:           8
        .value_kind:     by_value
      - .offset:         56
        .size:           8
        .value_kind:     by_value
      - .offset:         64
        .size:           8
        .value_kind:     by_value
      - .offset:         72
        .size:           8
        .value_kind:     by_value
      - .offset:         80
        .size:           8
        .value_kind:     by_value
      - .offset:         88
        .size:           8
        .value_kind:     by_value
      - .offset:         96
        .size:           8
        .value_kind:     by_value
      - .offset:         104
        .size:           8
        .value_kind:     by_value
      - .offset:         112
        .size:           8
        .value_kind:     by_value
      - .offset:         120
        .size:           8
        .value_kind:     by_value
      - .offset:         128
        .size:           8
        .value_kind:     by_value
      - .offset:         136
        .size:           4
        .value_kind:     hidden_block_count_x
      - .offset:         140
        .size:           4
        .value_kind:     hidden_block_count_y
      - .offset:         144
        .size:           4
        .value_kind:     hidden_block_count_z
      - .offset:         148
        .size:           2
        .value_kind:     hidden_group_size_x
      - .offset:         150
        .size:           2
        .value_kind:     hidden_group_size_y
      - .offset:         152
        .size:           2
        .value_kind:     hidden_group_size_z
      - .offset:         154
        .size:           2
        .value_kind:     hidden_remainder_x
      - .offset:         156
        .size:           2
        .value_kind:     hidden_remainder_y
      - .offset:         158
        .size:           2
        .value_kind:     hidden_remainder_z
      - .offset:         176
        .size:           8
        .value_kind:     hidden_global_offset_x
      - .offset:         184
        .size:           8
        .value_kind:     hidden_global_offset_y
      - .offset:         192
        .size:           8
        .value_kind:     hidden_global_offset_z
      - .offset:         200
        .size:           2
        .value_kind:     hidden_grid_dims
    .group_segment_fixed_size: 0
    .kernarg_segment_align: 8
    .kernarg_segment_size: 392
    .language:       OpenCL C
    .language_version:
      - 2
      - 0
    .max_flat_workgroup_size: 1024
    .name:           _ZL9cpy_q_f32IXadL_ZL17cpy_blck_q8_0_f32PKcPcEELi32EEvS1_S2_lllllllllllllll
    .private_segment_fixed_size: 0
    .sgpr_count:     56
    .sgpr_spill_count: 0
    .symbol:         _ZL9cpy_q_f32IXadL_ZL17cpy_blck_q8_0_f32PKcPcEELi32EEvS1_S2_lllllllllllllll.kd
    .uniform_work_group_size: 1
    .uses_dynamic_stack: false
    .vgpr_count:     25
    .vgpr_spill_count: 0
    .wavefront_size: 64
  - .args:
      - .address_space:  global
        .offset:         0
        .size:           8
        .value_kind:     global_buffer
      - .address_space:  global
        .offset:         8
        .size:           8
        .value_kind:     global_buffer
      - .offset:         16
        .size:           8
        .value_kind:     by_value
      - .offset:         24
        .size:           8
        .value_kind:     by_value
      - .offset:         32
        .size:           8
        .value_kind:     by_value
      - .offset:         40
        .size:           8
        .value_kind:     by_value
      - .offset:         48
        .size:           8
        .value_kind:     by_value
      - .offset:         56
        .size:           8
        .value_kind:     by_value
      - .offset:         64
        .size:           8
        .value_kind:     by_value
      - .offset:         72
        .size:           8
        .value_kind:     by_value
      - .offset:         80
        .size:           8
        .value_kind:     by_value
      - .offset:         88
        .size:           8
        .value_kind:     by_value
      - .offset:         96
        .size:           8
        .value_kind:     by_value
      - .offset:         104
        .size:           8
        .value_kind:     by_value
      - .offset:         112
        .size:           8
        .value_kind:     by_value
      - .offset:         120
        .size:           8
        .value_kind:     by_value
      - .offset:         128
        .size:           8
        .value_kind:     by_value
      - .offset:         136
        .size:           4
        .value_kind:     hidden_block_count_x
      - .offset:         140
        .size:           4
        .value_kind:     hidden_block_count_y
      - .offset:         144
        .size:           4
        .value_kind:     hidden_block_count_z
      - .offset:         148
        .size:           2
        .value_kind:     hidden_group_size_x
      - .offset:         150
        .size:           2
        .value_kind:     hidden_group_size_y
      - .offset:         152
        .size:           2
        .value_kind:     hidden_group_size_z
      - .offset:         154
        .size:           2
        .value_kind:     hidden_remainder_x
      - .offset:         156
        .size:           2
        .value_kind:     hidden_remainder_y
      - .offset:         158
        .size:           2
        .value_kind:     hidden_remainder_z
      - .offset:         176
        .size:           8
        .value_kind:     hidden_global_offset_x
      - .offset:         184
        .size:           8
        .value_kind:     hidden_global_offset_y
      - .offset:         192
        .size:           8
        .value_kind:     hidden_global_offset_z
      - .offset:         200
        .size:           2
        .value_kind:     hidden_grid_dims
    .group_segment_fixed_size: 0
    .kernarg_segment_align: 8
    .kernarg_segment_size: 392
    .language:       OpenCL C
    .language_version:
      - 2
      - 0
    .max_flat_workgroup_size: 1024
    .name:           _ZL9cpy_f32_qIXadL_ZL17cpy_blck_f32_q4_0PKcPcEELi32EEvS1_S2_lllllllllllllll
    .private_segment_fixed_size: 0
    .sgpr_count:     56
    .sgpr_spill_count: 0
    .symbol:         _ZL9cpy_f32_qIXadL_ZL17cpy_blck_f32_q4_0PKcPcEELi32EEvS1_S2_lllllllllllllll.kd
    .uniform_work_group_size: 1
    .uses_dynamic_stack: false
    .vgpr_count:     48
    .vgpr_spill_count: 0
    .wavefront_size: 64
  - .args:
      - .address_space:  global
        .offset:         0
        .size:           8
        .value_kind:     global_buffer
      - .address_space:  global
        .offset:         8
        .size:           8
        .value_kind:     global_buffer
      - .offset:         16
        .size:           8
        .value_kind:     by_value
      - .offset:         24
        .size:           8
        .value_kind:     by_value
      - .offset:         32
        .size:           8
        .value_kind:     by_value
      - .offset:         40
        .size:           8
        .value_kind:     by_value
      - .offset:         48
        .size:           8
        .value_kind:     by_value
      - .offset:         56
        .size:           8
        .value_kind:     by_value
      - .offset:         64
        .size:           8
        .value_kind:     by_value
      - .offset:         72
        .size:           8
        .value_kind:     by_value
      - .offset:         80
        .size:           8
        .value_kind:     by_value
      - .offset:         88
        .size:           8
        .value_kind:     by_value
      - .offset:         96
        .size:           8
        .value_kind:     by_value
      - .offset:         104
        .size:           8
        .value_kind:     by_value
      - .offset:         112
        .size:           8
        .value_kind:     by_value
      - .offset:         120
        .size:           8
        .value_kind:     by_value
      - .offset:         128
        .size:           8
        .value_kind:     by_value
      - .offset:         136
        .size:           4
        .value_kind:     hidden_block_count_x
      - .offset:         140
        .size:           4
        .value_kind:     hidden_block_count_y
      - .offset:         144
        .size:           4
        .value_kind:     hidden_block_count_z
      - .offset:         148
        .size:           2
        .value_kind:     hidden_group_size_x
      - .offset:         150
        .size:           2
        .value_kind:     hidden_group_size_y
      - .offset:         152
        .size:           2
        .value_kind:     hidden_group_size_z
      - .offset:         154
        .size:           2
        .value_kind:     hidden_remainder_x
      - .offset:         156
        .size:           2
        .value_kind:     hidden_remainder_y
      - .offset:         158
        .size:           2
        .value_kind:     hidden_remainder_z
      - .offset:         176
        .size:           8
        .value_kind:     hidden_global_offset_x
      - .offset:         184
        .size:           8
        .value_kind:     hidden_global_offset_y
      - .offset:         192
        .size:           8
        .value_kind:     hidden_global_offset_z
      - .offset:         200
        .size:           2
        .value_kind:     hidden_grid_dims
    .group_segment_fixed_size: 0
    .kernarg_segment_align: 8
    .kernarg_segment_size: 392
    .language:       OpenCL C
    .language_version:
      - 2
      - 0
    .max_flat_workgroup_size: 1024
    .name:           _ZL9cpy_q_f32IXadL_ZL14cpy_blck_q_f32IXadL_ZL15dequantize_q4_0PKvliR15HIP_vector_typeIfLj2EEEELi32EEvPKcPcEELi32EEvS7_S8_lllllllllllllll
    .private_segment_fixed_size: 0
    .sgpr_count:     56
    .sgpr_spill_count: 0
    .symbol:         _ZL9cpy_q_f32IXadL_ZL14cpy_blck_q_f32IXadL_ZL15dequantize_q4_0PKvliR15HIP_vector_typeIfLj2EEEELi32EEvPKcPcEELi32EEvS7_S8_lllllllllllllll.kd
    .uniform_work_group_size: 1
    .uses_dynamic_stack: false
    .vgpr_count:     25
    .vgpr_spill_count: 0
    .wavefront_size: 64
  - .args:
      - .address_space:  global
        .offset:         0
        .size:           8
        .value_kind:     global_buffer
      - .address_space:  global
        .offset:         8
        .size:           8
        .value_kind:     global_buffer
      - .offset:         16
        .size:           8
        .value_kind:     by_value
      - .offset:         24
        .size:           8
        .value_kind:     by_value
      - .offset:         32
        .size:           8
        .value_kind:     by_value
      - .offset:         40
        .size:           8
        .value_kind:     by_value
      - .offset:         48
        .size:           8
        .value_kind:     by_value
      - .offset:         56
        .size:           8
        .value_kind:     by_value
      - .offset:         64
        .size:           8
        .value_kind:     by_value
      - .offset:         72
        .size:           8
        .value_kind:     by_value
      - .offset:         80
        .size:           8
        .value_kind:     by_value
      - .offset:         88
        .size:           8
        .value_kind:     by_value
      - .offset:         96
        .size:           8
        .value_kind:     by_value
      - .offset:         104
        .size:           8
        .value_kind:     by_value
      - .offset:         112
        .size:           8
        .value_kind:     by_value
      - .offset:         120
        .size:           8
        .value_kind:     by_value
      - .offset:         128
        .size:           8
        .value_kind:     by_value
      - .offset:         136
        .size:           4
        .value_kind:     hidden_block_count_x
      - .offset:         140
        .size:           4
        .value_kind:     hidden_block_count_y
      - .offset:         144
        .size:           4
        .value_kind:     hidden_block_count_z
      - .offset:         148
        .size:           2
        .value_kind:     hidden_group_size_x
      - .offset:         150
        .size:           2
        .value_kind:     hidden_group_size_y
      - .offset:         152
        .size:           2
        .value_kind:     hidden_group_size_z
      - .offset:         154
        .size:           2
        .value_kind:     hidden_remainder_x
      - .offset:         156
        .size:           2
        .value_kind:     hidden_remainder_y
      - .offset:         158
        .size:           2
        .value_kind:     hidden_remainder_z
      - .offset:         176
        .size:           8
        .value_kind:     hidden_global_offset_x
      - .offset:         184
        .size:           8
        .value_kind:     hidden_global_offset_y
      - .offset:         192
        .size:           8
        .value_kind:     hidden_global_offset_z
      - .offset:         200
        .size:           2
        .value_kind:     hidden_grid_dims
    .group_segment_fixed_size: 0
    .kernarg_segment_align: 8
    .kernarg_segment_size: 392
    .language:       OpenCL C
    .language_version:
      - 2
      - 0
    .max_flat_workgroup_size: 1024
    .name:           _ZL9cpy_f32_qIXadL_ZL17cpy_blck_f32_q4_1PKcPcEELi32EEvS1_S2_lllllllllllllll
    .private_segment_fixed_size: 0
    .sgpr_count:     56
    .sgpr_spill_count: 0
    .symbol:         _ZL9cpy_f32_qIXadL_ZL17cpy_blck_f32_q4_1PKcPcEELi32EEvS1_S2_lllllllllllllll.kd
    .uniform_work_group_size: 1
    .uses_dynamic_stack: false
    .vgpr_count:     47
    .vgpr_spill_count: 0
    .wavefront_size: 64
  - .args:
      - .address_space:  global
        .offset:         0
        .size:           8
        .value_kind:     global_buffer
      - .address_space:  global
        .offset:         8
        .size:           8
        .value_kind:     global_buffer
      - .offset:         16
        .size:           8
        .value_kind:     by_value
      - .offset:         24
        .size:           8
        .value_kind:     by_value
      - .offset:         32
        .size:           8
        .value_kind:     by_value
      - .offset:         40
        .size:           8
        .value_kind:     by_value
      - .offset:         48
        .size:           8
        .value_kind:     by_value
      - .offset:         56
        .size:           8
        .value_kind:     by_value
      - .offset:         64
        .size:           8
        .value_kind:     by_value
      - .offset:         72
        .size:           8
        .value_kind:     by_value
      - .offset:         80
        .size:           8
        .value_kind:     by_value
      - .offset:         88
        .size:           8
        .value_kind:     by_value
      - .offset:         96
        .size:           8
        .value_kind:     by_value
      - .offset:         104
        .size:           8
        .value_kind:     by_value
      - .offset:         112
        .size:           8
        .value_kind:     by_value
      - .offset:         120
        .size:           8
        .value_kind:     by_value
      - .offset:         128
        .size:           8
        .value_kind:     by_value
      - .offset:         136
        .size:           4
        .value_kind:     hidden_block_count_x
      - .offset:         140
        .size:           4
        .value_kind:     hidden_block_count_y
      - .offset:         144
        .size:           4
        .value_kind:     hidden_block_count_z
      - .offset:         148
        .size:           2
        .value_kind:     hidden_group_size_x
      - .offset:         150
        .size:           2
        .value_kind:     hidden_group_size_y
      - .offset:         152
        .size:           2
        .value_kind:     hidden_group_size_z
      - .offset:         154
        .size:           2
        .value_kind:     hidden_remainder_x
      - .offset:         156
        .size:           2
        .value_kind:     hidden_remainder_y
      - .offset:         158
        .size:           2
        .value_kind:     hidden_remainder_z
      - .offset:         176
        .size:           8
        .value_kind:     hidden_global_offset_x
      - .offset:         184
        .size:           8
        .value_kind:     hidden_global_offset_y
      - .offset:         192
        .size:           8
        .value_kind:     hidden_global_offset_z
      - .offset:         200
        .size:           2
        .value_kind:     hidden_grid_dims
    .group_segment_fixed_size: 0
    .kernarg_segment_align: 8
    .kernarg_segment_size: 392
    .language:       OpenCL C
    .language_version:
      - 2
      - 0
    .max_flat_workgroup_size: 1024
    .name:           _ZL9cpy_q_f32IXadL_ZL14cpy_blck_q_f32IXadL_ZL15dequantize_q4_1PKvliR15HIP_vector_typeIfLj2EEEELi32EEvPKcPcEELi32EEvS7_S8_lllllllllllllll
    .private_segment_fixed_size: 0
    .sgpr_count:     56
    .sgpr_spill_count: 0
    .symbol:         _ZL9cpy_q_f32IXadL_ZL14cpy_blck_q_f32IXadL_ZL15dequantize_q4_1PKvliR15HIP_vector_typeIfLj2EEEELi32EEvPKcPcEELi32EEvS7_S8_lllllllllllllll.kd
    .uniform_work_group_size: 1
    .uses_dynamic_stack: false
    .vgpr_count:     25
    .vgpr_spill_count: 0
    .wavefront_size: 64
  - .args:
      - .address_space:  global
        .offset:         0
        .size:           8
        .value_kind:     global_buffer
      - .address_space:  global
        .offset:         8
        .size:           8
        .value_kind:     global_buffer
      - .offset:         16
        .size:           8
        .value_kind:     by_value
      - .offset:         24
        .size:           8
        .value_kind:     by_value
      - .offset:         32
        .size:           8
        .value_kind:     by_value
      - .offset:         40
        .size:           8
        .value_kind:     by_value
      - .offset:         48
        .size:           8
        .value_kind:     by_value
      - .offset:         56
        .size:           8
        .value_kind:     by_value
      - .offset:         64
        .size:           8
        .value_kind:     by_value
      - .offset:         72
        .size:           8
        .value_kind:     by_value
      - .offset:         80
        .size:           8
        .value_kind:     by_value
      - .offset:         88
        .size:           8
        .value_kind:     by_value
      - .offset:         96
        .size:           8
        .value_kind:     by_value
      - .offset:         104
        .size:           8
        .value_kind:     by_value
      - .offset:         112
        .size:           8
        .value_kind:     by_value
      - .offset:         120
        .size:           8
        .value_kind:     by_value
      - .offset:         128
        .size:           8
        .value_kind:     by_value
      - .offset:         136
        .size:           4
        .value_kind:     hidden_block_count_x
      - .offset:         140
        .size:           4
        .value_kind:     hidden_block_count_y
      - .offset:         144
        .size:           4
        .value_kind:     hidden_block_count_z
      - .offset:         148
        .size:           2
        .value_kind:     hidden_group_size_x
      - .offset:         150
        .size:           2
        .value_kind:     hidden_group_size_y
      - .offset:         152
        .size:           2
        .value_kind:     hidden_group_size_z
      - .offset:         154
        .size:           2
        .value_kind:     hidden_remainder_x
      - .offset:         156
        .size:           2
        .value_kind:     hidden_remainder_y
      - .offset:         158
        .size:           2
        .value_kind:     hidden_remainder_z
      - .offset:         176
        .size:           8
        .value_kind:     hidden_global_offset_x
      - .offset:         184
        .size:           8
        .value_kind:     hidden_global_offset_y
      - .offset:         192
        .size:           8
        .value_kind:     hidden_global_offset_z
      - .offset:         200
        .size:           2
        .value_kind:     hidden_grid_dims
    .group_segment_fixed_size: 0
    .kernarg_segment_align: 8
    .kernarg_segment_size: 392
    .language:       OpenCL C
    .language_version:
      - 2
      - 0
    .max_flat_workgroup_size: 1024
    .name:           _ZL9cpy_f32_qIXadL_ZL17cpy_blck_f32_q5_0PKcPcEELi32EEvS1_S2_lllllllllllllll
    .private_segment_fixed_size: 0
    .sgpr_count:     56
    .sgpr_spill_count: 0
    .symbol:         _ZL9cpy_f32_qIXadL_ZL17cpy_blck_f32_q5_0PKcPcEELi32EEvS1_S2_lllllllllllllll.kd
    .uniform_work_group_size: 1
    .uses_dynamic_stack: false
    .vgpr_count:     27
    .vgpr_spill_count: 0
    .wavefront_size: 64
  - .args:
      - .address_space:  global
        .offset:         0
        .size:           8
        .value_kind:     global_buffer
      - .address_space:  global
        .offset:         8
        .size:           8
        .value_kind:     global_buffer
      - .offset:         16
        .size:           8
        .value_kind:     by_value
      - .offset:         24
        .size:           8
        .value_kind:     by_value
      - .offset:         32
        .size:           8
        .value_kind:     by_value
      - .offset:         40
        .size:           8
        .value_kind:     by_value
      - .offset:         48
        .size:           8
        .value_kind:     by_value
      - .offset:         56
        .size:           8
        .value_kind:     by_value
      - .offset:         64
        .size:           8
        .value_kind:     by_value
      - .offset:         72
        .size:           8
        .value_kind:     by_value
      - .offset:         80
        .size:           8
        .value_kind:     by_value
      - .offset:         88
        .size:           8
        .value_kind:     by_value
      - .offset:         96
        .size:           8
        .value_kind:     by_value
      - .offset:         104
        .size:           8
        .value_kind:     by_value
      - .offset:         112
        .size:           8
        .value_kind:     by_value
      - .offset:         120
        .size:           8
        .value_kind:     by_value
      - .offset:         128
        .size:           8
        .value_kind:     by_value
      - .offset:         136
        .size:           4
        .value_kind:     hidden_block_count_x
      - .offset:         140
        .size:           4
        .value_kind:     hidden_block_count_y
      - .offset:         144
        .size:           4
        .value_kind:     hidden_block_count_z
      - .offset:         148
        .size:           2
        .value_kind:     hidden_group_size_x
      - .offset:         150
        .size:           2
        .value_kind:     hidden_group_size_y
      - .offset:         152
        .size:           2
        .value_kind:     hidden_group_size_z
      - .offset:         154
        .size:           2
        .value_kind:     hidden_remainder_x
      - .offset:         156
        .size:           2
        .value_kind:     hidden_remainder_y
      - .offset:         158
        .size:           2
        .value_kind:     hidden_remainder_z
      - .offset:         176
        .size:           8
        .value_kind:     hidden_global_offset_x
      - .offset:         184
        .size:           8
        .value_kind:     hidden_global_offset_y
      - .offset:         192
        .size:           8
        .value_kind:     hidden_global_offset_z
      - .offset:         200
        .size:           2
        .value_kind:     hidden_grid_dims
    .group_segment_fixed_size: 0
    .kernarg_segment_align: 8
    .kernarg_segment_size: 392
    .language:       OpenCL C
    .language_version:
      - 2
      - 0
    .max_flat_workgroup_size: 1024
    .name:           _ZL9cpy_q_f32IXadL_ZL14cpy_blck_q_f32IXadL_ZL15dequantize_q5_0PKvliR15HIP_vector_typeIfLj2EEEELi32EEvPKcPcEELi32EEvS7_S8_lllllllllllllll
    .private_segment_fixed_size: 0
    .sgpr_count:     56
    .sgpr_spill_count: 0
    .symbol:         _ZL9cpy_q_f32IXadL_ZL14cpy_blck_q_f32IXadL_ZL15dequantize_q5_0PKvliR15HIP_vector_typeIfLj2EEEELi32EEvPKcPcEELi32EEvS7_S8_lllllllllllllll.kd
    .uniform_work_group_size: 1
    .uses_dynamic_stack: false
    .vgpr_count:     25
    .vgpr_spill_count: 0
    .wavefront_size: 64
  - .args:
      - .address_space:  global
        .offset:         0
        .size:           8
        .value_kind:     global_buffer
      - .address_space:  global
        .offset:         8
        .size:           8
        .value_kind:     global_buffer
      - .offset:         16
        .size:           8
        .value_kind:     by_value
      - .offset:         24
        .size:           8
        .value_kind:     by_value
      - .offset:         32
        .size:           8
        .value_kind:     by_value
      - .offset:         40
        .size:           8
        .value_kind:     by_value
      - .offset:         48
        .size:           8
        .value_kind:     by_value
      - .offset:         56
        .size:           8
        .value_kind:     by_value
      - .offset:         64
        .size:           8
        .value_kind:     by_value
      - .offset:         72
        .size:           8
        .value_kind:     by_value
      - .offset:         80
        .size:           8
        .value_kind:     by_value
      - .offset:         88
        .size:           8
        .value_kind:     by_value
      - .offset:         96
        .size:           8
        .value_kind:     by_value
      - .offset:         104
        .size:           8
        .value_kind:     by_value
      - .offset:         112
        .size:           8
        .value_kind:     by_value
      - .offset:         120
        .size:           8
        .value_kind:     by_value
      - .offset:         128
        .size:           8
        .value_kind:     by_value
      - .offset:         136
        .size:           4
        .value_kind:     hidden_block_count_x
      - .offset:         140
        .size:           4
        .value_kind:     hidden_block_count_y
      - .offset:         144
        .size:           4
        .value_kind:     hidden_block_count_z
      - .offset:         148
        .size:           2
        .value_kind:     hidden_group_size_x
      - .offset:         150
        .size:           2
        .value_kind:     hidden_group_size_y
      - .offset:         152
        .size:           2
        .value_kind:     hidden_group_size_z
      - .offset:         154
        .size:           2
        .value_kind:     hidden_remainder_x
      - .offset:         156
        .size:           2
        .value_kind:     hidden_remainder_y
      - .offset:         158
        .size:           2
        .value_kind:     hidden_remainder_z
      - .offset:         176
        .size:           8
        .value_kind:     hidden_global_offset_x
      - .offset:         184
        .size:           8
        .value_kind:     hidden_global_offset_y
      - .offset:         192
        .size:           8
        .value_kind:     hidden_global_offset_z
      - .offset:         200
        .size:           2
        .value_kind:     hidden_grid_dims
    .group_segment_fixed_size: 0
    .kernarg_segment_align: 8
    .kernarg_segment_size: 392
    .language:       OpenCL C
    .language_version:
      - 2
      - 0
    .max_flat_workgroup_size: 1024
    .name:           _ZL9cpy_f32_qIXadL_ZL17cpy_blck_f32_q5_1PKcPcEELi32EEvS1_S2_lllllllllllllll
    .private_segment_fixed_size: 0
    .sgpr_count:     56
    .sgpr_spill_count: 0
    .symbol:         _ZL9cpy_f32_qIXadL_ZL17cpy_blck_f32_q5_1PKcPcEELi32EEvS1_S2_lllllllllllllll.kd
    .uniform_work_group_size: 1
    .uses_dynamic_stack: false
    .vgpr_count:     28
    .vgpr_spill_count: 0
    .wavefront_size: 64
  - .args:
      - .address_space:  global
        .offset:         0
        .size:           8
        .value_kind:     global_buffer
      - .address_space:  global
        .offset:         8
        .size:           8
        .value_kind:     global_buffer
      - .offset:         16
        .size:           8
        .value_kind:     by_value
      - .offset:         24
        .size:           8
        .value_kind:     by_value
      - .offset:         32
        .size:           8
        .value_kind:     by_value
      - .offset:         40
        .size:           8
        .value_kind:     by_value
      - .offset:         48
        .size:           8
        .value_kind:     by_value
      - .offset:         56
        .size:           8
        .value_kind:     by_value
      - .offset:         64
        .size:           8
        .value_kind:     by_value
      - .offset:         72
        .size:           8
        .value_kind:     by_value
      - .offset:         80
        .size:           8
        .value_kind:     by_value
      - .offset:         88
        .size:           8
        .value_kind:     by_value
      - .offset:         96
        .size:           8
        .value_kind:     by_value
      - .offset:         104
        .size:           8
        .value_kind:     by_value
      - .offset:         112
        .size:           8
        .value_kind:     by_value
      - .offset:         120
        .size:           8
        .value_kind:     by_value
      - .offset:         128
        .size:           8
        .value_kind:     by_value
      - .offset:         136
        .size:           4
        .value_kind:     hidden_block_count_x
      - .offset:         140
        .size:           4
        .value_kind:     hidden_block_count_y
      - .offset:         144
        .size:           4
        .value_kind:     hidden_block_count_z
      - .offset:         148
        .size:           2
        .value_kind:     hidden_group_size_x
      - .offset:         150
        .size:           2
        .value_kind:     hidden_group_size_y
      - .offset:         152
        .size:           2
        .value_kind:     hidden_group_size_z
      - .offset:         154
        .size:           2
        .value_kind:     hidden_remainder_x
      - .offset:         156
        .size:           2
        .value_kind:     hidden_remainder_y
      - .offset:         158
        .size:           2
        .value_kind:     hidden_remainder_z
      - .offset:         176
        .size:           8
        .value_kind:     hidden_global_offset_x
      - .offset:         184
        .size:           8
        .value_kind:     hidden_global_offset_y
      - .offset:         192
        .size:           8
        .value_kind:     hidden_global_offset_z
      - .offset:         200
        .size:           2
        .value_kind:     hidden_grid_dims
    .group_segment_fixed_size: 0
    .kernarg_segment_align: 8
    .kernarg_segment_size: 392
    .language:       OpenCL C
    .language_version:
      - 2
      - 0
    .max_flat_workgroup_size: 1024
    .name:           _ZL9cpy_q_f32IXadL_ZL14cpy_blck_q_f32IXadL_ZL15dequantize_q5_1PKvliR15HIP_vector_typeIfLj2EEEELi32EEvPKcPcEELi32EEvS7_S8_lllllllllllllll
    .private_segment_fixed_size: 0
    .sgpr_count:     56
    .sgpr_spill_count: 0
    .symbol:         _ZL9cpy_q_f32IXadL_ZL14cpy_blck_q_f32IXadL_ZL15dequantize_q5_1PKvliR15HIP_vector_typeIfLj2EEEELi32EEvPKcPcEELi32EEvS7_S8_lllllllllllllll.kd
    .uniform_work_group_size: 1
    .uses_dynamic_stack: false
    .vgpr_count:     25
    .vgpr_spill_count: 0
    .wavefront_size: 64
  - .args:
      - .address_space:  global
        .offset:         0
        .size:           8
        .value_kind:     global_buffer
      - .address_space:  global
        .offset:         8
        .size:           8
        .value_kind:     global_buffer
      - .offset:         16
        .size:           8
        .value_kind:     by_value
      - .offset:         24
        .size:           8
        .value_kind:     by_value
      - .offset:         32
        .size:           8
        .value_kind:     by_value
      - .offset:         40
        .size:           8
        .value_kind:     by_value
      - .offset:         48
        .size:           8
        .value_kind:     by_value
      - .offset:         56
        .size:           8
        .value_kind:     by_value
      - .offset:         64
        .size:           8
        .value_kind:     by_value
      - .offset:         72
        .size:           8
        .value_kind:     by_value
      - .offset:         80
        .size:           8
        .value_kind:     by_value
      - .offset:         88
        .size:           8
        .value_kind:     by_value
      - .offset:         96
        .size:           8
        .value_kind:     by_value
      - .offset:         104
        .size:           8
        .value_kind:     by_value
      - .offset:         112
        .size:           8
        .value_kind:     by_value
      - .offset:         120
        .size:           8
        .value_kind:     by_value
      - .offset:         128
        .size:           8
        .value_kind:     by_value
      - .offset:         136
        .size:           4
        .value_kind:     hidden_block_count_x
      - .offset:         140
        .size:           4
        .value_kind:     hidden_block_count_y
      - .offset:         144
        .size:           4
        .value_kind:     hidden_block_count_z
      - .offset:         148
        .size:           2
        .value_kind:     hidden_group_size_x
      - .offset:         150
        .size:           2
        .value_kind:     hidden_group_size_y
      - .offset:         152
        .size:           2
        .value_kind:     hidden_group_size_z
      - .offset:         154
        .size:           2
        .value_kind:     hidden_remainder_x
      - .offset:         156
        .size:           2
        .value_kind:     hidden_remainder_y
      - .offset:         158
        .size:           2
        .value_kind:     hidden_remainder_z
      - .offset:         176
        .size:           8
        .value_kind:     hidden_global_offset_x
      - .offset:         184
        .size:           8
        .value_kind:     hidden_global_offset_y
      - .offset:         192
        .size:           8
        .value_kind:     hidden_global_offset_z
      - .offset:         200
        .size:           2
        .value_kind:     hidden_grid_dims
    .group_segment_fixed_size: 0
    .kernarg_segment_align: 8
    .kernarg_segment_size: 392
    .language:       OpenCL C
    .language_version:
      - 2
      - 0
    .max_flat_workgroup_size: 1024
    .name:           _ZL9cpy_f32_qIXadL_ZL19cpy_blck_f32_iq4_nlPKcPcEELi32EEvS1_S2_lllllllllllllll
    .private_segment_fixed_size: 0
    .sgpr_count:     56
    .sgpr_spill_count: 0
    .symbol:         _ZL9cpy_f32_qIXadL_ZL19cpy_blck_f32_iq4_nlPKcPcEELi32EEvS1_S2_lllllllllllllll.kd
    .uniform_work_group_size: 1
    .uses_dynamic_stack: false
    .vgpr_count:     28
    .vgpr_spill_count: 0
    .wavefront_size: 64
  - .args:
      - .address_space:  global
        .offset:         0
        .size:           8
        .value_kind:     global_buffer
      - .address_space:  global
        .offset:         8
        .size:           8
        .value_kind:     global_buffer
      - .offset:         16
        .size:           8
        .value_kind:     by_value
      - .offset:         24
        .size:           8
        .value_kind:     by_value
      - .offset:         32
        .size:           8
        .value_kind:     by_value
      - .offset:         40
        .size:           8
        .value_kind:     by_value
      - .offset:         48
        .size:           8
        .value_kind:     by_value
      - .offset:         56
        .size:           8
        .value_kind:     by_value
      - .offset:         64
        .size:           8
        .value_kind:     by_value
      - .offset:         72
        .size:           8
        .value_kind:     by_value
      - .offset:         80
        .size:           8
        .value_kind:     by_value
      - .offset:         88
        .size:           8
        .value_kind:     by_value
      - .offset:         96
        .size:           8
        .value_kind:     by_value
      - .offset:         104
        .size:           8
        .value_kind:     by_value
      - .offset:         112
        .size:           8
        .value_kind:     by_value
      - .offset:         120
        .size:           8
        .value_kind:     by_value
      - .offset:         128
        .size:           8
        .value_kind:     by_value
    .group_segment_fixed_size: 8448
    .kernarg_segment_align: 8
    .kernarg_segment_size: 136
    .language:       OpenCL C
    .language_version:
      - 2
      - 0
    .max_flat_workgroup_size: 1024
    .name:           _ZL20cpy_scalar_transposeIfEvPKcPclllllllllllllll
    .private_segment_fixed_size: 0
    .sgpr_count:     39
    .sgpr_spill_count: 0
    .symbol:         _ZL20cpy_scalar_transposeIfEvPKcPclllllllllllllll.kd
    .uniform_work_group_size: 1
    .uses_dynamic_stack: false
    .vgpr_count:     22
    .vgpr_spill_count: 0
    .wavefront_size: 64
  - .args:
      - .address_space:  global
        .offset:         0
        .size:           8
        .value_kind:     global_buffer
      - .address_space:  global
        .offset:         8
        .size:           8
        .value_kind:     global_buffer
      - .offset:         16
        .size:           8
        .value_kind:     by_value
      - .offset:         24
        .size:           8
        .value_kind:     by_value
      - .offset:         32
        .size:           8
        .value_kind:     by_value
      - .offset:         40
        .size:           8
        .value_kind:     by_value
      - .offset:         48
        .size:           8
        .value_kind:     by_value
      - .offset:         56
        .size:           8
        .value_kind:     by_value
      - .offset:         64
        .size:           8
        .value_kind:     by_value
      - .offset:         72
        .size:           8
        .value_kind:     by_value
      - .offset:         80
        .size:           8
        .value_kind:     by_value
      - .offset:         88
        .size:           8
        .value_kind:     by_value
      - .offset:         96
        .size:           8
        .value_kind:     by_value
      - .offset:         104
        .size:           8
        .value_kind:     by_value
      - .offset:         112
        .size:           8
        .value_kind:     by_value
      - .offset:         120
        .size:           8
        .value_kind:     by_value
      - .offset:         128
        .size:           8
        .value_kind:     by_value
      - .offset:         136
        .size:           4
        .value_kind:     hidden_block_count_x
      - .offset:         140
        .size:           4
        .value_kind:     hidden_block_count_y
      - .offset:         144
        .size:           4
        .value_kind:     hidden_block_count_z
      - .offset:         148
        .size:           2
        .value_kind:     hidden_group_size_x
      - .offset:         150
        .size:           2
        .value_kind:     hidden_group_size_y
      - .offset:         152
        .size:           2
        .value_kind:     hidden_group_size_z
      - .offset:         154
        .size:           2
        .value_kind:     hidden_remainder_x
      - .offset:         156
        .size:           2
        .value_kind:     hidden_remainder_y
      - .offset:         158
        .size:           2
        .value_kind:     hidden_remainder_z
      - .offset:         176
        .size:           8
        .value_kind:     hidden_global_offset_x
      - .offset:         184
        .size:           8
        .value_kind:     hidden_global_offset_y
      - .offset:         192
        .size:           8
        .value_kind:     hidden_global_offset_z
      - .offset:         200
        .size:           2
        .value_kind:     hidden_grid_dims
    .group_segment_fixed_size: 0
    .kernarg_segment_align: 8
    .kernarg_segment_size: 392
    .language:       OpenCL C
    .language_version:
      - 2
      - 0
    .max_flat_workgroup_size: 1024
    .name:           _ZL10cpy_scalarIXadL_ZL12cpy_1_scalarIffEvPKcPcEEEvS2_S3_lllllllllllllll
    .private_segment_fixed_size: 0
    .sgpr_count:     56
    .sgpr_spill_count: 0
    .symbol:         _ZL10cpy_scalarIXadL_ZL12cpy_1_scalarIffEvPKcPcEEEvS2_S3_lllllllllllllll.kd
    .uniform_work_group_size: 1
    .uses_dynamic_stack: false
    .vgpr_count:     25
    .vgpr_spill_count: 0
    .wavefront_size: 64
  - .args:
      - .address_space:  global
        .offset:         0
        .size:           8
        .value_kind:     global_buffer
      - .address_space:  global
        .offset:         8
        .size:           8
        .value_kind:     global_buffer
      - .offset:         16
        .size:           8
        .value_kind:     by_value
      - .offset:         24
        .size:           4
        .value_kind:     hidden_block_count_x
      - .offset:         28
        .size:           4
        .value_kind:     hidden_block_count_y
      - .offset:         32
        .size:           4
        .value_kind:     hidden_block_count_z
      - .offset:         36
        .size:           2
        .value_kind:     hidden_group_size_x
      - .offset:         38
        .size:           2
        .value_kind:     hidden_group_size_y
      - .offset:         40
        .size:           2
        .value_kind:     hidden_group_size_z
      - .offset:         42
        .size:           2
        .value_kind:     hidden_remainder_x
      - .offset:         44
        .size:           2
        .value_kind:     hidden_remainder_y
      - .offset:         46
        .size:           2
        .value_kind:     hidden_remainder_z
      - .offset:         64
        .size:           8
        .value_kind:     hidden_global_offset_x
      - .offset:         72
        .size:           8
        .value_kind:     hidden_global_offset_y
      - .offset:         80
        .size:           8
        .value_kind:     hidden_global_offset_z
      - .offset:         88
        .size:           2
        .value_kind:     hidden_grid_dims
    .group_segment_fixed_size: 0
    .kernarg_segment_align: 8
    .kernarg_segment_size: 280
    .language:       OpenCL C
    .language_version:
      - 2
      - 0
    .max_flat_workgroup_size: 1024
    .name:           _ZL21cpy_scalar_contiguousIf14__hip_bfloat16EvPKcPcl
    .private_segment_fixed_size: 0
    .sgpr_count:     11
    .sgpr_spill_count: 0
    .symbol:         _ZL21cpy_scalar_contiguousIf14__hip_bfloat16EvPKcPcl.kd
    .uniform_work_group_size: 1
    .uses_dynamic_stack: false
    .vgpr_count:     5
    .vgpr_spill_count: 0
    .wavefront_size: 64
  - .args:
      - .address_space:  global
        .offset:         0
        .size:           8
        .value_kind:     global_buffer
      - .address_space:  global
        .offset:         8
        .size:           8
        .value_kind:     global_buffer
      - .offset:         16
        .size:           8
        .value_kind:     by_value
      - .offset:         24
        .size:           8
        .value_kind:     by_value
      - .offset:         32
        .size:           8
        .value_kind:     by_value
      - .offset:         40
        .size:           8
        .value_kind:     by_value
      - .offset:         48
        .size:           8
        .value_kind:     by_value
      - .offset:         56
        .size:           8
        .value_kind:     by_value
      - .offset:         64
        .size:           8
        .value_kind:     by_value
      - .offset:         72
        .size:           8
        .value_kind:     by_value
      - .offset:         80
        .size:           8
        .value_kind:     by_value
      - .offset:         88
        .size:           8
        .value_kind:     by_value
      - .offset:         96
        .size:           8
        .value_kind:     by_value
      - .offset:         104
        .size:           8
        .value_kind:     by_value
      - .offset:         112
        .size:           8
        .value_kind:     by_value
      - .offset:         120
        .size:           8
        .value_kind:     by_value
      - .offset:         128
        .size:           8
        .value_kind:     by_value
    .group_segment_fixed_size: 8448
    .kernarg_segment_align: 8
    .kernarg_segment_size: 136
    .language:       OpenCL C
    .language_version:
      - 2
      - 0
    .max_flat_workgroup_size: 1024
    .name:           _ZL20cpy_scalar_transposeI14__hip_bfloat16EvPKcPclllllllllllllll
    .private_segment_fixed_size: 0
    .sgpr_count:     39
    .sgpr_spill_count: 0
    .symbol:         _ZL20cpy_scalar_transposeI14__hip_bfloat16EvPKcPclllllllllllllll.kd
    .uniform_work_group_size: 1
    .uses_dynamic_stack: false
    .vgpr_count:     22
    .vgpr_spill_count: 0
    .wavefront_size: 64
  - .args:
      - .address_space:  global
        .offset:         0
        .size:           8
        .value_kind:     global_buffer
      - .address_space:  global
        .offset:         8
        .size:           8
        .value_kind:     global_buffer
      - .offset:         16
        .size:           8
        .value_kind:     by_value
      - .offset:         24
        .size:           8
        .value_kind:     by_value
      - .offset:         32
        .size:           8
        .value_kind:     by_value
      - .offset:         40
        .size:           8
        .value_kind:     by_value
      - .offset:         48
        .size:           8
        .value_kind:     by_value
      - .offset:         56
        .size:           8
        .value_kind:     by_value
      - .offset:         64
        .size:           8
        .value_kind:     by_value
      - .offset:         72
        .size:           8
        .value_kind:     by_value
      - .offset:         80
        .size:           8
        .value_kind:     by_value
      - .offset:         88
        .size:           8
        .value_kind:     by_value
      - .offset:         96
        .size:           8
        .value_kind:     by_value
      - .offset:         104
        .size:           8
        .value_kind:     by_value
      - .offset:         112
        .size:           8
        .value_kind:     by_value
      - .offset:         120
        .size:           8
        .value_kind:     by_value
      - .offset:         128
        .size:           8
        .value_kind:     by_value
      - .offset:         136
        .size:           4
        .value_kind:     hidden_block_count_x
      - .offset:         140
        .size:           4
        .value_kind:     hidden_block_count_y
      - .offset:         144
        .size:           4
        .value_kind:     hidden_block_count_z
      - .offset:         148
        .size:           2
        .value_kind:     hidden_group_size_x
      - .offset:         150
        .size:           2
        .value_kind:     hidden_group_size_y
      - .offset:         152
        .size:           2
        .value_kind:     hidden_group_size_z
      - .offset:         154
        .size:           2
        .value_kind:     hidden_remainder_x
      - .offset:         156
        .size:           2
        .value_kind:     hidden_remainder_y
      - .offset:         158
        .size:           2
        .value_kind:     hidden_remainder_z
      - .offset:         176
        .size:           8
        .value_kind:     hidden_global_offset_x
      - .offset:         184
        .size:           8
        .value_kind:     hidden_global_offset_y
      - .offset:         192
        .size:           8
        .value_kind:     hidden_global_offset_z
      - .offset:         200
        .size:           2
        .value_kind:     hidden_grid_dims
    .group_segment_fixed_size: 0
    .kernarg_segment_align: 8
    .kernarg_segment_size: 392
    .language:       OpenCL C
    .language_version:
      - 2
      - 0
    .max_flat_workgroup_size: 1024
    .name:           _ZL10cpy_scalarIXadL_ZL12cpy_1_scalarIf14__hip_bfloat16EvPKcPcEEEvS3_S4_lllllllllllllll
    .private_segment_fixed_size: 0
    .sgpr_count:     56
    .sgpr_spill_count: 0
    .symbol:         _ZL10cpy_scalarIXadL_ZL12cpy_1_scalarIf14__hip_bfloat16EvPKcPcEEEvS3_S4_lllllllllllllll.kd
    .uniform_work_group_size: 1
    .uses_dynamic_stack: false
    .vgpr_count:     25
    .vgpr_spill_count: 0
    .wavefront_size: 64
  - .args:
      - .address_space:  global
        .offset:         0
        .size:           8
        .value_kind:     global_buffer
      - .address_space:  global
        .offset:         8
        .size:           8
        .value_kind:     global_buffer
      - .offset:         16
        .size:           8
        .value_kind:     by_value
      - .offset:         24
        .size:           4
        .value_kind:     hidden_block_count_x
      - .offset:         28
        .size:           4
        .value_kind:     hidden_block_count_y
      - .offset:         32
        .size:           4
        .value_kind:     hidden_block_count_z
      - .offset:         36
        .size:           2
        .value_kind:     hidden_group_size_x
      - .offset:         38
        .size:           2
        .value_kind:     hidden_group_size_y
      - .offset:         40
        .size:           2
        .value_kind:     hidden_group_size_z
      - .offset:         42
        .size:           2
        .value_kind:     hidden_remainder_x
      - .offset:         44
        .size:           2
        .value_kind:     hidden_remainder_y
      - .offset:         46
        .size:           2
        .value_kind:     hidden_remainder_z
      - .offset:         64
        .size:           8
        .value_kind:     hidden_global_offset_x
      - .offset:         72
        .size:           8
        .value_kind:     hidden_global_offset_y
      - .offset:         80
        .size:           8
        .value_kind:     hidden_global_offset_z
      - .offset:         88
        .size:           2
        .value_kind:     hidden_grid_dims
    .group_segment_fixed_size: 0
    .kernarg_segment_align: 8
    .kernarg_segment_size: 280
    .language:       OpenCL C
    .language_version:
      - 2
      - 0
    .max_flat_workgroup_size: 1024
    .name:           _ZL21cpy_scalar_contiguousIf6__halfEvPKcPcl
    .private_segment_fixed_size: 0
    .sgpr_count:     11
    .sgpr_spill_count: 0
    .symbol:         _ZL21cpy_scalar_contiguousIf6__halfEvPKcPcl.kd
    .uniform_work_group_size: 1
    .uses_dynamic_stack: false
    .vgpr_count:     5
    .vgpr_spill_count: 0
    .wavefront_size: 64
  - .args:
      - .address_space:  global
        .offset:         0
        .size:           8
        .value_kind:     global_buffer
      - .address_space:  global
        .offset:         8
        .size:           8
        .value_kind:     global_buffer
      - .offset:         16
        .size:           8
        .value_kind:     by_value
      - .offset:         24
        .size:           8
        .value_kind:     by_value
      - .offset:         32
        .size:           8
        .value_kind:     by_value
      - .offset:         40
        .size:           8
        .value_kind:     by_value
      - .offset:         48
        .size:           8
        .value_kind:     by_value
      - .offset:         56
        .size:           8
        .value_kind:     by_value
      - .offset:         64
        .size:           8
        .value_kind:     by_value
      - .offset:         72
        .size:           8
        .value_kind:     by_value
      - .offset:         80
        .size:           8
        .value_kind:     by_value
      - .offset:         88
        .size:           8
        .value_kind:     by_value
      - .offset:         96
        .size:           8
        .value_kind:     by_value
      - .offset:         104
        .size:           8
        .value_kind:     by_value
      - .offset:         112
        .size:           8
        .value_kind:     by_value
      - .offset:         120
        .size:           8
        .value_kind:     by_value
      - .offset:         128
        .size:           8
        .value_kind:     by_value
    .group_segment_fixed_size: 8448
    .kernarg_segment_align: 8
    .kernarg_segment_size: 136
    .language:       OpenCL C
    .language_version:
      - 2
      - 0
    .max_flat_workgroup_size: 1024
    .name:           _ZL20cpy_scalar_transposeI6__halfEvPKcPclllllllllllllll
    .private_segment_fixed_size: 0
    .sgpr_count:     39
    .sgpr_spill_count: 0
    .symbol:         _ZL20cpy_scalar_transposeI6__halfEvPKcPclllllllllllllll.kd
    .uniform_work_group_size: 1
    .uses_dynamic_stack: false
    .vgpr_count:     22
    .vgpr_spill_count: 0
    .wavefront_size: 64
  - .args:
      - .address_space:  global
        .offset:         0
        .size:           8
        .value_kind:     global_buffer
      - .address_space:  global
        .offset:         8
        .size:           8
        .value_kind:     global_buffer
      - .offset:         16
        .size:           8
        .value_kind:     by_value
      - .offset:         24
        .size:           8
        .value_kind:     by_value
      - .offset:         32
        .size:           8
        .value_kind:     by_value
      - .offset:         40
        .size:           8
        .value_kind:     by_value
      - .offset:         48
        .size:           8
        .value_kind:     by_value
      - .offset:         56
        .size:           8
        .value_kind:     by_value
      - .offset:         64
        .size:           8
        .value_kind:     by_value
      - .offset:         72
        .size:           8
        .value_kind:     by_value
      - .offset:         80
        .size:           8
        .value_kind:     by_value
      - .offset:         88
        .size:           8
        .value_kind:     by_value
      - .offset:         96
        .size:           8
        .value_kind:     by_value
      - .offset:         104
        .size:           8
        .value_kind:     by_value
      - .offset:         112
        .size:           8
        .value_kind:     by_value
      - .offset:         120
        .size:           8
        .value_kind:     by_value
      - .offset:         128
        .size:           8
        .value_kind:     by_value
      - .offset:         136
        .size:           4
        .value_kind:     hidden_block_count_x
      - .offset:         140
        .size:           4
        .value_kind:     hidden_block_count_y
      - .offset:         144
        .size:           4
        .value_kind:     hidden_block_count_z
      - .offset:         148
        .size:           2
        .value_kind:     hidden_group_size_x
      - .offset:         150
        .size:           2
        .value_kind:     hidden_group_size_y
      - .offset:         152
        .size:           2
        .value_kind:     hidden_group_size_z
      - .offset:         154
        .size:           2
        .value_kind:     hidden_remainder_x
      - .offset:         156
        .size:           2
        .value_kind:     hidden_remainder_y
      - .offset:         158
        .size:           2
        .value_kind:     hidden_remainder_z
      - .offset:         176
        .size:           8
        .value_kind:     hidden_global_offset_x
      - .offset:         184
        .size:           8
        .value_kind:     hidden_global_offset_y
      - .offset:         192
        .size:           8
        .value_kind:     hidden_global_offset_z
      - .offset:         200
        .size:           2
        .value_kind:     hidden_grid_dims
    .group_segment_fixed_size: 0
    .kernarg_segment_align: 8
    .kernarg_segment_size: 392
    .language:       OpenCL C
    .language_version:
      - 2
      - 0
    .max_flat_workgroup_size: 1024
    .name:           _ZL10cpy_scalarIXadL_ZL12cpy_1_scalarIf6__halfEvPKcPcEEEvS3_S4_lllllllllllllll
    .private_segment_fixed_size: 0
    .sgpr_count:     56
    .sgpr_spill_count: 0
    .symbol:         _ZL10cpy_scalarIXadL_ZL12cpy_1_scalarIf6__halfEvPKcPcEEEvS3_S4_lllllllllllllll.kd
    .uniform_work_group_size: 1
    .uses_dynamic_stack: false
    .vgpr_count:     25
    .vgpr_spill_count: 0
    .wavefront_size: 64
  - .args:
      - .address_space:  global
        .offset:         0
        .size:           8
        .value_kind:     global_buffer
      - .address_space:  global
        .offset:         8
        .size:           8
        .value_kind:     global_buffer
      - .offset:         16
        .size:           8
        .value_kind:     by_value
      - .offset:         24
        .size:           8
        .value_kind:     by_value
      - .offset:         32
        .size:           8
        .value_kind:     by_value
      - .offset:         40
        .size:           8
        .value_kind:     by_value
      - .offset:         48
        .size:           8
        .value_kind:     by_value
      - .offset:         56
        .size:           8
        .value_kind:     by_value
      - .offset:         64
        .size:           8
        .value_kind:     by_value
      - .offset:         72
        .size:           8
        .value_kind:     by_value
      - .offset:         80
        .size:           8
        .value_kind:     by_value
      - .offset:         88
        .size:           8
        .value_kind:     by_value
      - .offset:         96
        .size:           8
        .value_kind:     by_value
      - .offset:         104
        .size:           8
        .value_kind:     by_value
      - .offset:         112
        .size:           8
        .value_kind:     by_value
      - .offset:         120
        .size:           8
        .value_kind:     by_value
      - .offset:         128
        .size:           8
        .value_kind:     by_value
      - .offset:         136
        .size:           4
        .value_kind:     hidden_block_count_x
      - .offset:         140
        .size:           4
        .value_kind:     hidden_block_count_y
      - .offset:         144
        .size:           4
        .value_kind:     hidden_block_count_z
      - .offset:         148
        .size:           2
        .value_kind:     hidden_group_size_x
      - .offset:         150
        .size:           2
        .value_kind:     hidden_group_size_y
      - .offset:         152
        .size:           2
        .value_kind:     hidden_group_size_z
      - .offset:         154
        .size:           2
        .value_kind:     hidden_remainder_x
      - .offset:         156
        .size:           2
        .value_kind:     hidden_remainder_y
      - .offset:         158
        .size:           2
        .value_kind:     hidden_remainder_z
      - .offset:         176
        .size:           8
        .value_kind:     hidden_global_offset_x
      - .offset:         184
        .size:           8
        .value_kind:     hidden_global_offset_y
      - .offset:         192
        .size:           8
        .value_kind:     hidden_global_offset_z
      - .offset:         200
        .size:           2
        .value_kind:     hidden_grid_dims
    .group_segment_fixed_size: 0
    .kernarg_segment_align: 8
    .kernarg_segment_size: 392
    .language:       OpenCL C
    .language_version:
      - 2
      - 0
    .max_flat_workgroup_size: 1024
    .name:           _ZL10cpy_scalarIXadL_ZL12cpy_1_scalarI6__halfS1_EvPKcPcEEEvS3_S4_lllllllllllllll
    .private_segment_fixed_size: 0
    .sgpr_count:     56
    .sgpr_spill_count: 0
    .symbol:         _ZL10cpy_scalarIXadL_ZL12cpy_1_scalarI6__halfS1_EvPKcPcEEEvS3_S4_lllllllllllllll.kd
    .uniform_work_group_size: 1
    .uses_dynamic_stack: false
    .vgpr_count:     25
    .vgpr_spill_count: 0
    .wavefront_size: 64
  - .args:
      - .address_space:  global
        .offset:         0
        .size:           8
        .value_kind:     global_buffer
      - .address_space:  global
        .offset:         8
        .size:           8
        .value_kind:     global_buffer
      - .offset:         16
        .size:           8
        .value_kind:     by_value
      - .offset:         24
        .size:           4
        .value_kind:     hidden_block_count_x
      - .offset:         28
        .size:           4
        .value_kind:     hidden_block_count_y
      - .offset:         32
        .size:           4
        .value_kind:     hidden_block_count_z
      - .offset:         36
        .size:           2
        .value_kind:     hidden_group_size_x
      - .offset:         38
        .size:           2
        .value_kind:     hidden_group_size_y
      - .offset:         40
        .size:           2
        .value_kind:     hidden_group_size_z
      - .offset:         42
        .size:           2
        .value_kind:     hidden_remainder_x
      - .offset:         44
        .size:           2
        .value_kind:     hidden_remainder_y
      - .offset:         46
        .size:           2
        .value_kind:     hidden_remainder_z
      - .offset:         64
        .size:           8
        .value_kind:     hidden_global_offset_x
      - .offset:         72
        .size:           8
        .value_kind:     hidden_global_offset_y
      - .offset:         80
        .size:           8
        .value_kind:     hidden_global_offset_z
      - .offset:         88
        .size:           2
        .value_kind:     hidden_grid_dims
    .group_segment_fixed_size: 0
    .kernarg_segment_align: 8
    .kernarg_segment_size: 280
    .language:       OpenCL C
    .language_version:
      - 2
      - 0
    .max_flat_workgroup_size: 1024
    .name:           _ZL21cpy_scalar_contiguousI6__half14__hip_bfloat16EvPKcPcl
    .private_segment_fixed_size: 0
    .sgpr_count:     11
    .sgpr_spill_count: 0
    .symbol:         _ZL21cpy_scalar_contiguousI6__half14__hip_bfloat16EvPKcPcl.kd
    .uniform_work_group_size: 1
    .uses_dynamic_stack: false
    .vgpr_count:     6
    .vgpr_spill_count: 0
    .wavefront_size: 64
  - .args:
      - .address_space:  global
        .offset:         0
        .size:           8
        .value_kind:     global_buffer
      - .address_space:  global
        .offset:         8
        .size:           8
        .value_kind:     global_buffer
      - .offset:         16
        .size:           8
        .value_kind:     by_value
      - .offset:         24
        .size:           8
        .value_kind:     by_value
      - .offset:         32
        .size:           8
        .value_kind:     by_value
      - .offset:         40
        .size:           8
        .value_kind:     by_value
      - .offset:         48
        .size:           8
        .value_kind:     by_value
      - .offset:         56
        .size:           8
        .value_kind:     by_value
      - .offset:         64
        .size:           8
        .value_kind:     by_value
      - .offset:         72
        .size:           8
        .value_kind:     by_value
      - .offset:         80
        .size:           8
        .value_kind:     by_value
      - .offset:         88
        .size:           8
        .value_kind:     by_value
      - .offset:         96
        .size:           8
        .value_kind:     by_value
      - .offset:         104
        .size:           8
        .value_kind:     by_value
      - .offset:         112
        .size:           8
        .value_kind:     by_value
      - .offset:         120
        .size:           8
        .value_kind:     by_value
      - .offset:         128
        .size:           8
        .value_kind:     by_value
      - .offset:         136
        .size:           4
        .value_kind:     hidden_block_count_x
      - .offset:         140
        .size:           4
        .value_kind:     hidden_block_count_y
      - .offset:         144
        .size:           4
        .value_kind:     hidden_block_count_z
      - .offset:         148
        .size:           2
        .value_kind:     hidden_group_size_x
      - .offset:         150
        .size:           2
        .value_kind:     hidden_group_size_y
      - .offset:         152
        .size:           2
        .value_kind:     hidden_group_size_z
      - .offset:         154
        .size:           2
        .value_kind:     hidden_remainder_x
      - .offset:         156
        .size:           2
        .value_kind:     hidden_remainder_y
      - .offset:         158
        .size:           2
        .value_kind:     hidden_remainder_z
      - .offset:         176
        .size:           8
        .value_kind:     hidden_global_offset_x
      - .offset:         184
        .size:           8
        .value_kind:     hidden_global_offset_y
      - .offset:         192
        .size:           8
        .value_kind:     hidden_global_offset_z
      - .offset:         200
        .size:           2
        .value_kind:     hidden_grid_dims
    .group_segment_fixed_size: 0
    .kernarg_segment_align: 8
    .kernarg_segment_size: 392
    .language:       OpenCL C
    .language_version:
      - 2
      - 0
    .max_flat_workgroup_size: 1024
    .name:           _ZL10cpy_scalarIXadL_ZL12cpy_1_scalarI6__half14__hip_bfloat16EvPKcPcEEEvS4_S5_lllllllllllllll
    .private_segment_fixed_size: 0
    .sgpr_count:     56
    .sgpr_spill_count: 0
    .symbol:         _ZL10cpy_scalarIXadL_ZL12cpy_1_scalarI6__half14__hip_bfloat16EvPKcPcEEEvS4_S5_lllllllllllllll.kd
    .uniform_work_group_size: 1
    .uses_dynamic_stack: false
    .vgpr_count:     25
    .vgpr_spill_count: 0
    .wavefront_size: 64
  - .args:
      - .address_space:  global
        .offset:         0
        .size:           8
        .value_kind:     global_buffer
      - .address_space:  global
        .offset:         8
        .size:           8
        .value_kind:     global_buffer
      - .offset:         16
        .size:           8
        .value_kind:     by_value
      - .offset:         24
        .size:           4
        .value_kind:     hidden_block_count_x
      - .offset:         28
        .size:           4
        .value_kind:     hidden_block_count_y
      - .offset:         32
        .size:           4
        .value_kind:     hidden_block_count_z
      - .offset:         36
        .size:           2
        .value_kind:     hidden_group_size_x
      - .offset:         38
        .size:           2
        .value_kind:     hidden_group_size_y
      - .offset:         40
        .size:           2
        .value_kind:     hidden_group_size_z
      - .offset:         42
        .size:           2
        .value_kind:     hidden_remainder_x
      - .offset:         44
        .size:           2
        .value_kind:     hidden_remainder_y
      - .offset:         46
        .size:           2
        .value_kind:     hidden_remainder_z
      - .offset:         64
        .size:           8
        .value_kind:     hidden_global_offset_x
      - .offset:         72
        .size:           8
        .value_kind:     hidden_global_offset_y
      - .offset:         80
        .size:           8
        .value_kind:     hidden_global_offset_z
      - .offset:         88
        .size:           2
        .value_kind:     hidden_grid_dims
    .group_segment_fixed_size: 0
    .kernarg_segment_align: 8
    .kernarg_segment_size: 280
    .language:       OpenCL C
    .language_version:
      - 2
      - 0
    .max_flat_workgroup_size: 1024
    .name:           _ZL21cpy_scalar_contiguousI6__halffEvPKcPcl
    .private_segment_fixed_size: 0
    .sgpr_count:     11
    .sgpr_spill_count: 0
    .symbol:         _ZL21cpy_scalar_contiguousI6__halffEvPKcPcl.kd
    .uniform_work_group_size: 1
    .uses_dynamic_stack: false
    .vgpr_count:     5
    .vgpr_spill_count: 0
    .wavefront_size: 64
  - .args:
      - .address_space:  global
        .offset:         0
        .size:           8
        .value_kind:     global_buffer
      - .address_space:  global
        .offset:         8
        .size:           8
        .value_kind:     global_buffer
      - .offset:         16
        .size:           8
        .value_kind:     by_value
      - .offset:         24
        .size:           8
        .value_kind:     by_value
      - .offset:         32
        .size:           8
        .value_kind:     by_value
      - .offset:         40
        .size:           8
        .value_kind:     by_value
      - .offset:         48
        .size:           8
        .value_kind:     by_value
      - .offset:         56
        .size:           8
        .value_kind:     by_value
      - .offset:         64
        .size:           8
        .value_kind:     by_value
      - .offset:         72
        .size:           8
        .value_kind:     by_value
      - .offset:         80
        .size:           8
        .value_kind:     by_value
      - .offset:         88
        .size:           8
        .value_kind:     by_value
      - .offset:         96
        .size:           8
        .value_kind:     by_value
      - .offset:         104
        .size:           8
        .value_kind:     by_value
      - .offset:         112
        .size:           8
        .value_kind:     by_value
      - .offset:         120
        .size:           8
        .value_kind:     by_value
      - .offset:         128
        .size:           8
        .value_kind:     by_value
      - .offset:         136
        .size:           4
        .value_kind:     hidden_block_count_x
      - .offset:         140
        .size:           4
        .value_kind:     hidden_block_count_y
      - .offset:         144
        .size:           4
        .value_kind:     hidden_block_count_z
      - .offset:         148
        .size:           2
        .value_kind:     hidden_group_size_x
      - .offset:         150
        .size:           2
        .value_kind:     hidden_group_size_y
      - .offset:         152
        .size:           2
        .value_kind:     hidden_group_size_z
      - .offset:         154
        .size:           2
        .value_kind:     hidden_remainder_x
      - .offset:         156
        .size:           2
        .value_kind:     hidden_remainder_y
      - .offset:         158
        .size:           2
        .value_kind:     hidden_remainder_z
      - .offset:         176
        .size:           8
        .value_kind:     hidden_global_offset_x
      - .offset:         184
        .size:           8
        .value_kind:     hidden_global_offset_y
      - .offset:         192
        .size:           8
        .value_kind:     hidden_global_offset_z
      - .offset:         200
        .size:           2
        .value_kind:     hidden_grid_dims
    .group_segment_fixed_size: 0
    .kernarg_segment_align: 8
    .kernarg_segment_size: 392
    .language:       OpenCL C
    .language_version:
      - 2
      - 0
    .max_flat_workgroup_size: 1024
    .name:           _ZL10cpy_scalarIXadL_ZL12cpy_1_scalarI6__halffEvPKcPcEEEvS3_S4_lllllllllllllll
    .private_segment_fixed_size: 0
    .sgpr_count:     56
    .sgpr_spill_count: 0
    .symbol:         _ZL10cpy_scalarIXadL_ZL12cpy_1_scalarI6__halffEvPKcPcEEEvS3_S4_lllllllllllllll.kd
    .uniform_work_group_size: 1
    .uses_dynamic_stack: false
    .vgpr_count:     25
    .vgpr_spill_count: 0
    .wavefront_size: 64
  - .args:
      - .address_space:  global
        .offset:         0
        .size:           8
        .value_kind:     global_buffer
      - .address_space:  global
        .offset:         8
        .size:           8
        .value_kind:     global_buffer
      - .offset:         16
        .size:           8
        .value_kind:     by_value
      - .offset:         24
        .size:           8
        .value_kind:     by_value
      - .offset:         32
        .size:           8
        .value_kind:     by_value
      - .offset:         40
        .size:           8
        .value_kind:     by_value
      - .offset:         48
        .size:           8
        .value_kind:     by_value
      - .offset:         56
        .size:           8
        .value_kind:     by_value
      - .offset:         64
        .size:           8
        .value_kind:     by_value
      - .offset:         72
        .size:           8
        .value_kind:     by_value
      - .offset:         80
        .size:           8
        .value_kind:     by_value
      - .offset:         88
        .size:           8
        .value_kind:     by_value
      - .offset:         96
        .size:           8
        .value_kind:     by_value
      - .offset:         104
        .size:           8
        .value_kind:     by_value
      - .offset:         112
        .size:           8
        .value_kind:     by_value
      - .offset:         120
        .size:           8
        .value_kind:     by_value
      - .offset:         128
        .size:           8
        .value_kind:     by_value
      - .offset:         136
        .size:           4
        .value_kind:     hidden_block_count_x
      - .offset:         140
        .size:           4
        .value_kind:     hidden_block_count_y
      - .offset:         144
        .size:           4
        .value_kind:     hidden_block_count_z
      - .offset:         148
        .size:           2
        .value_kind:     hidden_group_size_x
      - .offset:         150
        .size:           2
        .value_kind:     hidden_group_size_y
      - .offset:         152
        .size:           2
        .value_kind:     hidden_group_size_z
      - .offset:         154
        .size:           2
        .value_kind:     hidden_remainder_x
      - .offset:         156
        .size:           2
        .value_kind:     hidden_remainder_y
      - .offset:         158
        .size:           2
        .value_kind:     hidden_remainder_z
      - .offset:         176
        .size:           8
        .value_kind:     hidden_global_offset_x
      - .offset:         184
        .size:           8
        .value_kind:     hidden_global_offset_y
      - .offset:         192
        .size:           8
        .value_kind:     hidden_global_offset_z
      - .offset:         200
        .size:           2
        .value_kind:     hidden_grid_dims
    .group_segment_fixed_size: 0
    .kernarg_segment_align: 8
    .kernarg_segment_size: 392
    .language:       OpenCL C
    .language_version:
      - 2
      - 0
    .max_flat_workgroup_size: 1024
    .name:           _ZL10cpy_scalarIXadL_ZL12cpy_1_scalarI14__hip_bfloat16S1_EvPKcPcEEEvS3_S4_lllllllllllllll
    .private_segment_fixed_size: 0
    .sgpr_count:     56
    .sgpr_spill_count: 0
    .symbol:         _ZL10cpy_scalarIXadL_ZL12cpy_1_scalarI14__hip_bfloat16S1_EvPKcPcEEEvS3_S4_lllllllllllllll.kd
    .uniform_work_group_size: 1
    .uses_dynamic_stack: false
    .vgpr_count:     25
    .vgpr_spill_count: 0
    .wavefront_size: 64
  - .args:
      - .address_space:  global
        .offset:         0
        .size:           8
        .value_kind:     global_buffer
      - .address_space:  global
        .offset:         8
        .size:           8
        .value_kind:     global_buffer
      - .offset:         16
        .size:           8
        .value_kind:     by_value
      - .offset:         24
        .size:           4
        .value_kind:     hidden_block_count_x
      - .offset:         28
        .size:           4
        .value_kind:     hidden_block_count_y
      - .offset:         32
        .size:           4
        .value_kind:     hidden_block_count_z
      - .offset:         36
        .size:           2
        .value_kind:     hidden_group_size_x
      - .offset:         38
        .size:           2
        .value_kind:     hidden_group_size_y
      - .offset:         40
        .size:           2
        .value_kind:     hidden_group_size_z
      - .offset:         42
        .size:           2
        .value_kind:     hidden_remainder_x
      - .offset:         44
        .size:           2
        .value_kind:     hidden_remainder_y
      - .offset:         46
        .size:           2
        .value_kind:     hidden_remainder_z
      - .offset:         64
        .size:           8
        .value_kind:     hidden_global_offset_x
      - .offset:         72
        .size:           8
        .value_kind:     hidden_global_offset_y
      - .offset:         80
        .size:           8
        .value_kind:     hidden_global_offset_z
      - .offset:         88
        .size:           2
        .value_kind:     hidden_grid_dims
    .group_segment_fixed_size: 0
    .kernarg_segment_align: 8
    .kernarg_segment_size: 280
    .language:       OpenCL C
    .language_version:
      - 2
      - 0
    .max_flat_workgroup_size: 1024
    .name:           _ZL21cpy_scalar_contiguousI14__hip_bfloat166__halfEvPKcPcl
    .private_segment_fixed_size: 0
    .sgpr_count:     11
    .sgpr_spill_count: 0
    .symbol:         _ZL21cpy_scalar_contiguousI14__hip_bfloat166__halfEvPKcPcl.kd
    .uniform_work_group_size: 1
    .uses_dynamic_stack: false
    .vgpr_count:     4
    .vgpr_spill_count: 0
    .wavefront_size: 64
  - .args:
      - .address_space:  global
        .offset:         0
        .size:           8
        .value_kind:     global_buffer
      - .address_space:  global
        .offset:         8
        .size:           8
        .value_kind:     global_buffer
      - .offset:         16
        .size:           8
        .value_kind:     by_value
      - .offset:         24
        .size:           8
        .value_kind:     by_value
      - .offset:         32
        .size:           8
        .value_kind:     by_value
      - .offset:         40
        .size:           8
        .value_kind:     by_value
      - .offset:         48
        .size:           8
        .value_kind:     by_value
      - .offset:         56
        .size:           8
        .value_kind:     by_value
      - .offset:         64
        .size:           8
        .value_kind:     by_value
      - .offset:         72
        .size:           8
        .value_kind:     by_value
      - .offset:         80
        .size:           8
        .value_kind:     by_value
      - .offset:         88
        .size:           8
        .value_kind:     by_value
      - .offset:         96
        .size:           8
        .value_kind:     by_value
      - .offset:         104
        .size:           8
        .value_kind:     by_value
      - .offset:         112
        .size:           8
        .value_kind:     by_value
      - .offset:         120
        .size:           8
        .value_kind:     by_value
      - .offset:         128
        .size:           8
        .value_kind:     by_value
      - .offset:         136
        .size:           4
        .value_kind:     hidden_block_count_x
      - .offset:         140
        .size:           4
        .value_kind:     hidden_block_count_y
      - .offset:         144
        .size:           4
        .value_kind:     hidden_block_count_z
      - .offset:         148
        .size:           2
        .value_kind:     hidden_group_size_x
      - .offset:         150
        .size:           2
        .value_kind:     hidden_group_size_y
      - .offset:         152
        .size:           2
        .value_kind:     hidden_group_size_z
      - .offset:         154
        .size:           2
        .value_kind:     hidden_remainder_x
      - .offset:         156
        .size:           2
        .value_kind:     hidden_remainder_y
      - .offset:         158
        .size:           2
        .value_kind:     hidden_remainder_z
      - .offset:         176
        .size:           8
        .value_kind:     hidden_global_offset_x
      - .offset:         184
        .size:           8
        .value_kind:     hidden_global_offset_y
      - .offset:         192
        .size:           8
        .value_kind:     hidden_global_offset_z
      - .offset:         200
        .size:           2
        .value_kind:     hidden_grid_dims
    .group_segment_fixed_size: 0
    .kernarg_segment_align: 8
    .kernarg_segment_size: 392
    .language:       OpenCL C
    .language_version:
      - 2
      - 0
    .max_flat_workgroup_size: 1024
    .name:           _ZL10cpy_scalarIXadL_ZL12cpy_1_scalarI14__hip_bfloat166__halfEvPKcPcEEEvS4_S5_lllllllllllllll
    .private_segment_fixed_size: 0
    .sgpr_count:     56
    .sgpr_spill_count: 0
    .symbol:         _ZL10cpy_scalarIXadL_ZL12cpy_1_scalarI14__hip_bfloat166__halfEvPKcPcEEEvS4_S5_lllllllllllllll.kd
    .uniform_work_group_size: 1
    .uses_dynamic_stack: false
    .vgpr_count:     25
    .vgpr_spill_count: 0
    .wavefront_size: 64
  - .args:
      - .address_space:  global
        .offset:         0
        .size:           8
        .value_kind:     global_buffer
      - .address_space:  global
        .offset:         8
        .size:           8
        .value_kind:     global_buffer
      - .offset:         16
        .size:           8
        .value_kind:     by_value
      - .offset:         24
        .size:           4
        .value_kind:     hidden_block_count_x
      - .offset:         28
        .size:           4
        .value_kind:     hidden_block_count_y
      - .offset:         32
        .size:           4
        .value_kind:     hidden_block_count_z
      - .offset:         36
        .size:           2
        .value_kind:     hidden_group_size_x
      - .offset:         38
        .size:           2
        .value_kind:     hidden_group_size_y
      - .offset:         40
        .size:           2
        .value_kind:     hidden_group_size_z
      - .offset:         42
        .size:           2
        .value_kind:     hidden_remainder_x
      - .offset:         44
        .size:           2
        .value_kind:     hidden_remainder_y
      - .offset:         46
        .size:           2
        .value_kind:     hidden_remainder_z
      - .offset:         64
        .size:           8
        .value_kind:     hidden_global_offset_x
      - .offset:         72
        .size:           8
        .value_kind:     hidden_global_offset_y
      - .offset:         80
        .size:           8
        .value_kind:     hidden_global_offset_z
      - .offset:         88
        .size:           2
        .value_kind:     hidden_grid_dims
    .group_segment_fixed_size: 0
    .kernarg_segment_align: 8
    .kernarg_segment_size: 280
    .language:       OpenCL C
    .language_version:
      - 2
      - 0
    .max_flat_workgroup_size: 1024
    .name:           _ZL21cpy_scalar_contiguousI14__hip_bfloat16fEvPKcPcl
    .private_segment_fixed_size: 0
    .sgpr_count:     11
    .sgpr_spill_count: 0
    .symbol:         _ZL21cpy_scalar_contiguousI14__hip_bfloat16fEvPKcPcl.kd
    .uniform_work_group_size: 1
    .uses_dynamic_stack: false
    .vgpr_count:     5
    .vgpr_spill_count: 0
    .wavefront_size: 64
  - .args:
      - .address_space:  global
        .offset:         0
        .size:           8
        .value_kind:     global_buffer
      - .address_space:  global
        .offset:         8
        .size:           8
        .value_kind:     global_buffer
      - .offset:         16
        .size:           8
        .value_kind:     by_value
      - .offset:         24
        .size:           8
        .value_kind:     by_value
      - .offset:         32
        .size:           8
        .value_kind:     by_value
      - .offset:         40
        .size:           8
        .value_kind:     by_value
      - .offset:         48
        .size:           8
        .value_kind:     by_value
      - .offset:         56
        .size:           8
        .value_kind:     by_value
      - .offset:         64
        .size:           8
        .value_kind:     by_value
      - .offset:         72
        .size:           8
        .value_kind:     by_value
      - .offset:         80
        .size:           8
        .value_kind:     by_value
      - .offset:         88
        .size:           8
        .value_kind:     by_value
      - .offset:         96
        .size:           8
        .value_kind:     by_value
      - .offset:         104
        .size:           8
        .value_kind:     by_value
      - .offset:         112
        .size:           8
        .value_kind:     by_value
      - .offset:         120
        .size:           8
        .value_kind:     by_value
      - .offset:         128
        .size:           8
        .value_kind:     by_value
      - .offset:         136
        .size:           4
        .value_kind:     hidden_block_count_x
      - .offset:         140
        .size:           4
        .value_kind:     hidden_block_count_y
      - .offset:         144
        .size:           4
        .value_kind:     hidden_block_count_z
      - .offset:         148
        .size:           2
        .value_kind:     hidden_group_size_x
      - .offset:         150
        .size:           2
        .value_kind:     hidden_group_size_y
      - .offset:         152
        .size:           2
        .value_kind:     hidden_group_size_z
      - .offset:         154
        .size:           2
        .value_kind:     hidden_remainder_x
      - .offset:         156
        .size:           2
        .value_kind:     hidden_remainder_y
      - .offset:         158
        .size:           2
        .value_kind:     hidden_remainder_z
      - .offset:         176
        .size:           8
        .value_kind:     hidden_global_offset_x
      - .offset:         184
        .size:           8
        .value_kind:     hidden_global_offset_y
      - .offset:         192
        .size:           8
        .value_kind:     hidden_global_offset_z
      - .offset:         200
        .size:           2
        .value_kind:     hidden_grid_dims
    .group_segment_fixed_size: 0
    .kernarg_segment_align: 8
    .kernarg_segment_size: 392
    .language:       OpenCL C
    .language_version:
      - 2
      - 0
    .max_flat_workgroup_size: 1024
    .name:           _ZL10cpy_scalarIXadL_ZL12cpy_1_scalarI14__hip_bfloat16fEvPKcPcEEEvS3_S4_lllllllllllllll
    .private_segment_fixed_size: 0
    .sgpr_count:     56
    .sgpr_spill_count: 0
    .symbol:         _ZL10cpy_scalarIXadL_ZL12cpy_1_scalarI14__hip_bfloat16fEvPKcPcEEEvS3_S4_lllllllllllllll.kd
    .uniform_work_group_size: 1
    .uses_dynamic_stack: false
    .vgpr_count:     25
    .vgpr_spill_count: 0
    .wavefront_size: 64
  - .args:
      - .address_space:  global
        .offset:         0
        .size:           8
        .value_kind:     global_buffer
      - .address_space:  global
        .offset:         8
        .size:           8
        .value_kind:     global_buffer
      - .offset:         16
        .size:           8
        .value_kind:     by_value
      - .offset:         24
        .size:           8
        .value_kind:     by_value
      - .offset:         32
        .size:           8
        .value_kind:     by_value
      - .offset:         40
        .size:           8
        .value_kind:     by_value
      - .offset:         48
        .size:           8
        .value_kind:     by_value
      - .offset:         56
        .size:           8
        .value_kind:     by_value
      - .offset:         64
        .size:           8
        .value_kind:     by_value
      - .offset:         72
        .size:           8
        .value_kind:     by_value
      - .offset:         80
        .size:           8
        .value_kind:     by_value
      - .offset:         88
        .size:           8
        .value_kind:     by_value
      - .offset:         96
        .size:           8
        .value_kind:     by_value
      - .offset:         104
        .size:           8
        .value_kind:     by_value
      - .offset:         112
        .size:           8
        .value_kind:     by_value
      - .offset:         120
        .size:           8
        .value_kind:     by_value
      - .offset:         128
        .size:           8
        .value_kind:     by_value
    .group_segment_fixed_size: 8448
    .kernarg_segment_align: 8
    .kernarg_segment_size: 136
    .language:       OpenCL C
    .language_version:
      - 2
      - 0
    .max_flat_workgroup_size: 1024
    .name:           _ZL20cpy_scalar_transposeIiEvPKcPclllllllllllllll
    .private_segment_fixed_size: 0
    .sgpr_count:     39
    .sgpr_spill_count: 0
    .symbol:         _ZL20cpy_scalar_transposeIiEvPKcPclllllllllllllll.kd
    .uniform_work_group_size: 1
    .uses_dynamic_stack: false
    .vgpr_count:     22
    .vgpr_spill_count: 0
    .wavefront_size: 64
  - .args:
      - .address_space:  global
        .offset:         0
        .size:           8
        .value_kind:     global_buffer
      - .address_space:  global
        .offset:         8
        .size:           8
        .value_kind:     global_buffer
      - .offset:         16
        .size:           8
        .value_kind:     by_value
      - .offset:         24
        .size:           8
        .value_kind:     by_value
      - .offset:         32
        .size:           8
        .value_kind:     by_value
      - .offset:         40
        .size:           8
        .value_kind:     by_value
      - .offset:         48
        .size:           8
        .value_kind:     by_value
      - .offset:         56
        .size:           8
        .value_kind:     by_value
      - .offset:         64
        .size:           8
        .value_kind:     by_value
      - .offset:         72
        .size:           8
        .value_kind:     by_value
      - .offset:         80
        .size:           8
        .value_kind:     by_value
      - .offset:         88
        .size:           8
        .value_kind:     by_value
      - .offset:         96
        .size:           8
        .value_kind:     by_value
      - .offset:         104
        .size:           8
        .value_kind:     by_value
      - .offset:         112
        .size:           8
        .value_kind:     by_value
      - .offset:         120
        .size:           8
        .value_kind:     by_value
      - .offset:         128
        .size:           8
        .value_kind:     by_value
      - .offset:         136
        .size:           4
        .value_kind:     hidden_block_count_x
      - .offset:         140
        .size:           4
        .value_kind:     hidden_block_count_y
      - .offset:         144
        .size:           4
        .value_kind:     hidden_block_count_z
      - .offset:         148
        .size:           2
        .value_kind:     hidden_group_size_x
      - .offset:         150
        .size:           2
        .value_kind:     hidden_group_size_y
      - .offset:         152
        .size:           2
        .value_kind:     hidden_group_size_z
      - .offset:         154
        .size:           2
        .value_kind:     hidden_remainder_x
      - .offset:         156
        .size:           2
        .value_kind:     hidden_remainder_y
      - .offset:         158
        .size:           2
        .value_kind:     hidden_remainder_z
      - .offset:         176
        .size:           8
        .value_kind:     hidden_global_offset_x
      - .offset:         184
        .size:           8
        .value_kind:     hidden_global_offset_y
      - .offset:         192
        .size:           8
        .value_kind:     hidden_global_offset_z
      - .offset:         200
        .size:           2
        .value_kind:     hidden_grid_dims
    .group_segment_fixed_size: 0
    .kernarg_segment_align: 8
    .kernarg_segment_size: 392
    .language:       OpenCL C
    .language_version:
      - 2
      - 0
    .max_flat_workgroup_size: 1024
    .name:           _ZL10cpy_scalarIXadL_ZL12cpy_1_scalarIiiEvPKcPcEEEvS2_S3_lllllllllllllll
    .private_segment_fixed_size: 0
    .sgpr_count:     56
    .sgpr_spill_count: 0
    .symbol:         _ZL10cpy_scalarIXadL_ZL12cpy_1_scalarIiiEvPKcPcEEEvS2_S3_lllllllllllllll.kd
    .uniform_work_group_size: 1
    .uses_dynamic_stack: false
    .vgpr_count:     25
    .vgpr_spill_count: 0
    .wavefront_size: 64
  - .args:
      - .address_space:  global
        .offset:         0
        .size:           8
        .value_kind:     global_buffer
      - .address_space:  global
        .offset:         8
        .size:           8
        .value_kind:     global_buffer
      - .offset:         16
        .size:           8
        .value_kind:     by_value
      - .offset:         24
        .size:           4
        .value_kind:     hidden_block_count_x
      - .offset:         28
        .size:           4
        .value_kind:     hidden_block_count_y
      - .offset:         32
        .size:           4
        .value_kind:     hidden_block_count_z
      - .offset:         36
        .size:           2
        .value_kind:     hidden_group_size_x
      - .offset:         38
        .size:           2
        .value_kind:     hidden_group_size_y
      - .offset:         40
        .size:           2
        .value_kind:     hidden_group_size_z
      - .offset:         42
        .size:           2
        .value_kind:     hidden_remainder_x
      - .offset:         44
        .size:           2
        .value_kind:     hidden_remainder_y
      - .offset:         46
        .size:           2
        .value_kind:     hidden_remainder_z
      - .offset:         64
        .size:           8
        .value_kind:     hidden_global_offset_x
      - .offset:         72
        .size:           8
        .value_kind:     hidden_global_offset_y
      - .offset:         80
        .size:           8
        .value_kind:     hidden_global_offset_z
      - .offset:         88
        .size:           2
        .value_kind:     hidden_grid_dims
    .group_segment_fixed_size: 0
    .kernarg_segment_align: 8
    .kernarg_segment_size: 280
    .language:       OpenCL C
    .language_version:
      - 2
      - 0
    .max_flat_workgroup_size: 1024
    .name:           _ZL21cpy_scalar_contiguousIfiEvPKcPcl
    .private_segment_fixed_size: 0
    .sgpr_count:     11
    .sgpr_spill_count: 0
    .symbol:         _ZL21cpy_scalar_contiguousIfiEvPKcPcl.kd
    .uniform_work_group_size: 1
    .uses_dynamic_stack: false
    .vgpr_count:     4
    .vgpr_spill_count: 0
    .wavefront_size: 64
  - .args:
      - .address_space:  global
        .offset:         0
        .size:           8
        .value_kind:     global_buffer
      - .address_space:  global
        .offset:         8
        .size:           8
        .value_kind:     global_buffer
      - .offset:         16
        .size:           8
        .value_kind:     by_value
      - .offset:         24
        .size:           8
        .value_kind:     by_value
      - .offset:         32
        .size:           8
        .value_kind:     by_value
      - .offset:         40
        .size:           8
        .value_kind:     by_value
      - .offset:         48
        .size:           8
        .value_kind:     by_value
      - .offset:         56
        .size:           8
        .value_kind:     by_value
      - .offset:         64
        .size:           8
        .value_kind:     by_value
      - .offset:         72
        .size:           8
        .value_kind:     by_value
      - .offset:         80
        .size:           8
        .value_kind:     by_value
      - .offset:         88
        .size:           8
        .value_kind:     by_value
      - .offset:         96
        .size:           8
        .value_kind:     by_value
      - .offset:         104
        .size:           8
        .value_kind:     by_value
      - .offset:         112
        .size:           8
        .value_kind:     by_value
      - .offset:         120
        .size:           8
        .value_kind:     by_value
      - .offset:         128
        .size:           8
        .value_kind:     by_value
      - .offset:         136
        .size:           4
        .value_kind:     hidden_block_count_x
      - .offset:         140
        .size:           4
        .value_kind:     hidden_block_count_y
      - .offset:         144
        .size:           4
        .value_kind:     hidden_block_count_z
      - .offset:         148
        .size:           2
        .value_kind:     hidden_group_size_x
      - .offset:         150
        .size:           2
        .value_kind:     hidden_group_size_y
      - .offset:         152
        .size:           2
        .value_kind:     hidden_group_size_z
      - .offset:         154
        .size:           2
        .value_kind:     hidden_remainder_x
      - .offset:         156
        .size:           2
        .value_kind:     hidden_remainder_y
      - .offset:         158
        .size:           2
        .value_kind:     hidden_remainder_z
      - .offset:         176
        .size:           8
        .value_kind:     hidden_global_offset_x
      - .offset:         184
        .size:           8
        .value_kind:     hidden_global_offset_y
      - .offset:         192
        .size:           8
        .value_kind:     hidden_global_offset_z
      - .offset:         200
        .size:           2
        .value_kind:     hidden_grid_dims
    .group_segment_fixed_size: 0
    .kernarg_segment_align: 8
    .kernarg_segment_size: 392
    .language:       OpenCL C
    .language_version:
      - 2
      - 0
    .max_flat_workgroup_size: 1024
    .name:           _ZL10cpy_scalarIXadL_ZL12cpy_1_scalarIfiEvPKcPcEEEvS2_S3_lllllllllllllll
    .private_segment_fixed_size: 0
    .sgpr_count:     56
    .sgpr_spill_count: 0
    .symbol:         _ZL10cpy_scalarIXadL_ZL12cpy_1_scalarIfiEvPKcPcEEEvS2_S3_lllllllllllllll.kd
    .uniform_work_group_size: 1
    .uses_dynamic_stack: false
    .vgpr_count:     25
    .vgpr_spill_count: 0
    .wavefront_size: 64
  - .args:
      - .address_space:  global
        .offset:         0
        .size:           8
        .value_kind:     global_buffer
      - .address_space:  global
        .offset:         8
        .size:           8
        .value_kind:     global_buffer
      - .offset:         16
        .size:           8
        .value_kind:     by_value
      - .offset:         24
        .size:           4
        .value_kind:     hidden_block_count_x
      - .offset:         28
        .size:           4
        .value_kind:     hidden_block_count_y
      - .offset:         32
        .size:           4
        .value_kind:     hidden_block_count_z
      - .offset:         36
        .size:           2
        .value_kind:     hidden_group_size_x
      - .offset:         38
        .size:           2
        .value_kind:     hidden_group_size_y
      - .offset:         40
        .size:           2
        .value_kind:     hidden_group_size_z
      - .offset:         42
        .size:           2
        .value_kind:     hidden_remainder_x
      - .offset:         44
        .size:           2
        .value_kind:     hidden_remainder_y
      - .offset:         46
        .size:           2
        .value_kind:     hidden_remainder_z
      - .offset:         64
        .size:           8
        .value_kind:     hidden_global_offset_x
      - .offset:         72
        .size:           8
        .value_kind:     hidden_global_offset_y
      - .offset:         80
        .size:           8
        .value_kind:     hidden_global_offset_z
      - .offset:         88
        .size:           2
        .value_kind:     hidden_grid_dims
    .group_segment_fixed_size: 0
    .kernarg_segment_align: 8
    .kernarg_segment_size: 280
    .language:       OpenCL C
    .language_version:
      - 2
      - 0
    .max_flat_workgroup_size: 1024
    .name:           _ZL21cpy_scalar_contiguousIifEvPKcPcl
    .private_segment_fixed_size: 0
    .sgpr_count:     11
    .sgpr_spill_count: 0
    .symbol:         _ZL21cpy_scalar_contiguousIifEvPKcPcl.kd
    .uniform_work_group_size: 1
    .uses_dynamic_stack: false
    .vgpr_count:     4
    .vgpr_spill_count: 0
    .wavefront_size: 64
  - .args:
      - .address_space:  global
        .offset:         0
        .size:           8
        .value_kind:     global_buffer
      - .address_space:  global
        .offset:         8
        .size:           8
        .value_kind:     global_buffer
      - .offset:         16
        .size:           8
        .value_kind:     by_value
      - .offset:         24
        .size:           8
        .value_kind:     by_value
      - .offset:         32
        .size:           8
        .value_kind:     by_value
      - .offset:         40
        .size:           8
        .value_kind:     by_value
      - .offset:         48
        .size:           8
        .value_kind:     by_value
      - .offset:         56
        .size:           8
        .value_kind:     by_value
      - .offset:         64
        .size:           8
        .value_kind:     by_value
      - .offset:         72
        .size:           8
        .value_kind:     by_value
      - .offset:         80
        .size:           8
        .value_kind:     by_value
      - .offset:         88
        .size:           8
        .value_kind:     by_value
      - .offset:         96
        .size:           8
        .value_kind:     by_value
      - .offset:         104
        .size:           8
        .value_kind:     by_value
      - .offset:         112
        .size:           8
        .value_kind:     by_value
      - .offset:         120
        .size:           8
        .value_kind:     by_value
      - .offset:         128
        .size:           8
        .value_kind:     by_value
      - .offset:         136
        .size:           4
        .value_kind:     hidden_block_count_x
      - .offset:         140
        .size:           4
        .value_kind:     hidden_block_count_y
      - .offset:         144
        .size:           4
        .value_kind:     hidden_block_count_z
      - .offset:         148
        .size:           2
        .value_kind:     hidden_group_size_x
      - .offset:         150
        .size:           2
        .value_kind:     hidden_group_size_y
      - .offset:         152
        .size:           2
        .value_kind:     hidden_group_size_z
      - .offset:         154
        .size:           2
        .value_kind:     hidden_remainder_x
      - .offset:         156
        .size:           2
        .value_kind:     hidden_remainder_y
      - .offset:         158
        .size:           2
        .value_kind:     hidden_remainder_z
      - .offset:         176
        .size:           8
        .value_kind:     hidden_global_offset_x
      - .offset:         184
        .size:           8
        .value_kind:     hidden_global_offset_y
      - .offset:         192
        .size:           8
        .value_kind:     hidden_global_offset_z
      - .offset:         200
        .size:           2
        .value_kind:     hidden_grid_dims
    .group_segment_fixed_size: 0
    .kernarg_segment_align: 8
    .kernarg_segment_size: 392
    .language:       OpenCL C
    .language_version:
      - 2
      - 0
    .max_flat_workgroup_size: 1024
    .name:           _ZL10cpy_scalarIXadL_ZL12cpy_1_scalarIifEvPKcPcEEEvS2_S3_lllllllllllllll
    .private_segment_fixed_size: 0
    .sgpr_count:     56
    .sgpr_spill_count: 0
    .symbol:         _ZL10cpy_scalarIXadL_ZL12cpy_1_scalarIifEvPKcPcEEEvS2_S3_lllllllllllllll.kd
    .uniform_work_group_size: 1
    .uses_dynamic_stack: false
    .vgpr_count:     25
    .vgpr_spill_count: 0
    .wavefront_size: 64
amdhsa.target:   amdgcn-amd-amdhsa--gfx906
amdhsa.version:
  - 1
  - 2
...

	.end_amdgpu_metadata
